;; amdgpu-corpus repo=triton-lang/triton kind=triton arch=gfx950 opt=O3 lang=triton
	.amdgcn_target "amdgcn-amd-amdhsa--gfx950"
	.amdhsa_code_object_version 5
	.text
	.globl	_attn_bwd_preprocess            ; -- Begin function _attn_bwd_preprocess
	.p2align	8
	.type	_attn_bwd_preprocess,@function
_attn_bwd_preprocess:                   ; @_attn_bwd_preprocess
.Lfunc_begin0:
	.cfi_sections .debug_frame
	.cfi_startproc
; %bb.39:
	.file	1 "/root/src/amdgpu-assembly/repos/triton-lang__triton-aot" "attention_bwd.py"
	.loc	1 8 0 prologue_end              ; attention_bwd.py:8:0
	s_load_dwordx2 s[2:3], s[0:1], 0x0
	s_load_dwordx8 s[4:11], s[0:1], 0x8
	s_load_dwordx4 s[12:15], s[0:1], 0x28
	s_waitcnt lgkmcnt(0)
	s_branch .LBB0_0
	.loc	1 0 0 is_stmt 0                 ; :0:0
.Ltmp0:
	.p2align	8
; %bb.40:
.LBB0_0:
                                        ; implicit-def: $vgpr64 : SGPR spill to VGPR lane
.Ltmp1:
	.loc	1 21 45 is_stmt 1               ; attention_bwd.py:21:45
	v_readfirstlane_b32 s0, v0
	v_writelane_b32 v64, s6, 0
	.loc	1 13 31                         ; attention_bwd.py:13:31
	s_lshl_b32 s54, s16, 6
                                        ; implicit-def: $vgpr63 : SGPR spill to VGPR lane
	.loc	1 13 54 is_stmt 0               ; attention_bwd.py:13:54
	v_and_b32_e32 v1, 63, v0
	v_writelane_b32 v64, s7, 1
	v_writelane_b32 v64, s4, 2
	s_nop 1
	v_writelane_b32 v64, s5, 3
	.loc	1 13 31                         ; attention_bwd.py:13:31
	v_writelane_b32 v64, s0, 4
	.loc	1 13 54                         ; attention_bwd.py:13:54
	s_bfe_u32 s0, s0, 0x10007
	s_or_b32 s5, s0, 2
	v_writelane_b32 v64, s5, 5
	s_or_b32 s6, s0, 6
	s_or_b32 s7, s0, 10
	v_writelane_b32 v64, s6, 6
	s_or_b32 s9, s0, 14
	v_writelane_b32 v64, s7, 7
	;; [unrolled: 2-line block ×14, first 2 shown]
	.loc	1 13 41                         ; attention_bwd.py:13:41
	s_or_b32 s29, s8, s54
	.loc	1 17 40 is_stmt 1               ; attention_bwd.py:17:40
	s_mul_i32 s8, s17, s10
	.loc	1 13 54                         ; attention_bwd.py:13:54
	s_or_b32 s4, s0, s54
	v_writelane_b32 v64, s1, 20
	s_mov_b32 s0, s8
	.loc	1 13 41 is_stmt 0               ; attention_bwd.py:13:41
	s_or_b32 s31, s1, s54
	.loc	1 17 40 is_stmt 1               ; attention_bwd.py:17:40
	v_writelane_b32 v64, s0, 21
	.loc	1 13 41                         ; attention_bwd.py:13:41
	s_or_b32 s5, s5, s54
	s_or_b32 s6, s6, s54
	.loc	1 17 40                         ; attention_bwd.py:17:40
	v_writelane_b32 v64, s1, 22
	s_lshl_b32 s0, s8, 7
	.loc	1 17 20 is_stmt 0               ; attention_bwd.py:17:20
	s_ashr_i32 s1, s0, 31
	.loc	1 13 41 is_stmt 1               ; attention_bwd.py:13:41
	s_or_b32 s7, s7, s54
	s_or_b32 s9, s9, s54
	;; [unrolled: 1-line block ×12, first 2 shown]
	.loc	1 17 20                         ; attention_bwd.py:17:20
	s_lshl_b64 s[72:73], s[0:1], 1
	s_add_u32 s33, s2, s72
	s_addc_u32 s55, s3, s73
	.loc	1 13 41                         ; attention_bwd.py:13:41
	s_lshl_b32 s2, s4, 7
	.loc	1 17 48                         ; attention_bwd.py:17:48
	s_ashr_i32 s3, s2, 31
	.loc	1 17 65 is_stmt 0               ; attention_bwd.py:17:65
	s_or_b32 s26, s2, 0x200
	s_or_b32 s38, s2, 0x400
	;; [unrolled: 1-line block ×15, first 2 shown]
	.loc	1 17 48                         ; attention_bwd.py:17:48
	s_lshl_b64 s[74:75], s[2:3], 1
	.loc	1 17 65                         ; attention_bwd.py:17:65
	s_lshl_b32 s42, s5, 7
	s_lshl_b32 s58, s6, 7
	;; [unrolled: 1-line block ×16, first 2 shown]
	.loc	1 17 48                         ; attention_bwd.py:17:48
	s_add_u32 s56, s33, s74
	s_addc_u32 s57, s55, s75
	s_ashr_i32 s43, s42, 31
	v_writelane_b32 v64, s56, 23
	s_lshl_b64 s[76:77], s[42:43], 1
	s_nop 0
	v_writelane_b32 v64, s57, 24
	s_add_u32 s56, s33, s76
	s_addc_u32 s57, s55, s77
	s_ashr_i32 s27, s26, 31
	s_lshl_b64 s[78:79], s[26:27], 1
	s_add_u32 s62, s33, s78
	s_addc_u32 s63, s55, s79
	s_ashr_i32 s59, s58, 31
	s_lshl_b64 s[80:81], s[58:59], 1
	;; [unrolled: 4-line block ×7, first 2 shown]
	s_add_u32 s22, s33, s90
	s_addc_u32 s23, s55, s91
	s_ashr_i32 s93, s92, 31
	v_writelane_b32 v64, s22, 25
	s_lshl_b64 s[92:93], s[92:93], 1
	s_nop 0
	v_writelane_b32 v64, s23, 26
	s_add_u32 s22, s33, s92
	s_addc_u32 s23, s55, s93
	s_ashr_i32 s17, s16, 31
	s_lshl_b64 s[94:95], s[16:17], 1
	s_add_u32 s58, s33, s94
	s_addc_u32 s59, s55, s95
	s_ashr_i32 s97, s96, 31
	s_lshl_b64 s[96:97], s[96:97], 1
	s_add_u32 s16, s33, s96
	v_writelane_b32 v64, s22, 27
	s_addc_u32 s17, s55, s97
	s_ashr_i32 s13, s12, 31
	v_writelane_b32 v64, s23, 28
	s_lshl_b64 s[98:99], s[12:13], 1
	v_writelane_b32 v64, s16, 29
	s_add_u32 s12, s33, s98
	s_addc_u32 s13, s55, s99
	v_writelane_b32 v64, s17, 30
	s_ashr_i32 s21, s20, 31
	v_writelane_b32 v64, s12, 31
	s_lshl_b64 vcc, s[20:21], 1
	s_nop 0
	v_writelane_b32 v64, s13, 32
	s_add_u32 s12, s33, vcc_lo
	s_addc_u32 s13, s55, vcc_hi
	s_ashr_i32 s9, s8, 31
	s_lshl_b64 s[42:43], s[8:9], 1
	v_writelane_b32 v64, s12, 33
	s_add_u32 s8, s33, s42
	s_addc_u32 s9, s55, s43
	v_writelane_b32 v64, s13, 34
	s_ashr_i32 s15, s14, 31
	v_writelane_b32 v64, s8, 35
	s_lshl_b64 s[40:41], s[14:15], 1
	s_nop 0
	v_writelane_b32 v64, s9, 36
	s_add_u32 s8, s33, s40
	s_addc_u32 s9, s55, s41
	s_ashr_i32 s5, s4, 31
	s_lshl_b64 s[38:39], s[4:5], 1
	v_writelane_b32 v64, s8, 37
	s_add_u32 s4, s33, s38
	s_addc_u32 s5, s55, s39
	v_writelane_b32 v64, s9, 38
	s_ashr_i32 s11, s10, 31
	v_writelane_b32 v64, s4, 39
	s_lshl_b64 s[26:27], s[10:11], 1
	s_nop 0
	v_writelane_b32 v64, s5, 40
	s_add_u32 s4, s33, s26
	s_addc_u32 s5, s55, s27
	;; [unrolled: 13-line block ×3, first 2 shown]
	s_ashr_i32 s25, s24, 31
	v_writelane_b32 v64, s0, 45
	s_lshl_b64 s[16:17], s[24:25], 1
	s_nop 0
	v_writelane_b32 v64, s1, 46
	s_add_u32 s0, s33, s16
	s_addc_u32 s1, s55, s17
	s_ashr_i32 s19, s18, 31
	v_writelane_b32 v64, s0, 47
	s_lshl_b64 s[14:15], s[18:19], 1
	s_nop 0
	v_writelane_b32 v64, s1, 48
	s_add_u32 s0, s33, s14
	s_addc_u32 s1, s55, s15
	;; [unrolled: 7-line block ×11, first 2 shown]
	v_writelane_b32 v63, s0, 3
	s_ashr_i32 s51, s50, 31
	s_nop 0
	v_writelane_b32 v63, s1, 4
	s_lshl_b64 s[0:1], s[50:51], 1
	s_add_u32 s4, s33, s0
	s_addc_u32 s5, s55, s1
	v_writelane_b32 v63, s4, 5
	s_nop 1
	v_writelane_b32 v63, s5, 6
	v_readlane_b32 s4, v64, 2
	v_readlane_b32 s5, v64, 3
	.loc	1 18 22 is_stmt 1               ; attention_bwd.py:18:22
	s_add_u32 s33, s4, s72
	s_addc_u32 s55, s5, s73
	.loc	1 18 50 is_stmt 0               ; attention_bwd.py:18:50
	s_add_u32 s44, s33, s74
	s_addc_u32 s45, s55, s75
	s_add_u32 s46, s33, s76
	s_addc_u32 s47, s55, s77
	;; [unrolled: 2-line block ×13, first 2 shown]
	s_add_u32 s82, s33, vcc_lo
	s_addc_u32 s83, s55, vcc_hi
	s_add_u32 s52, s33, s42
	s_addc_u32 s53, s55, s43
	s_add_u32 s88, s33, s40
	s_addc_u32 s89, s55, s41
	;; [unrolled: 2-line block ×14, first 2 shown]
	s_add_u32 vcc_lo, s33, s36
	s_addc_u32 vcc_hi, s55, s37
	s_add_u32 s18, s33, s24
	s_addc_u32 s19, s55, s25
	s_add_u32 s2, s33, s30
	s_addc_u32 s3, s55, s31
	s_add_u32 s36, s33, s0
	v_readlane_b32 s0, v64, 4
	s_addc_u32 s37, s55, s1
	v_readlane_b32 s24, v63, 5
	.loc	1 13 54 is_stmt 1               ; attention_bwd.py:13:54
	v_and_or_b32 v2, s0, 64, v1
	.loc	1 17 76                         ; attention_bwd.py:17:76
	v_lshlrev_b32_e32 v2, 1, v2
	.loc	1 18 97                         ; attention_bwd.py:18:97
	global_load_ushort v24, v2, s[44:45]
	global_load_ushort v25, v2, s[46:47]
	;; [unrolled: 1-line block ×7, first 2 shown]
	.loc	1 19 23                         ; attention_bwd.py:19:23
	v_readlane_b32 s4, v64, 23
	v_readlane_b32 s5, v64, 24
	s_nop 4
	global_load_ushort v34, v2, s[4:5]
	global_load_ushort v36, v2, s[56:57]
	;; [unrolled: 1-line block ×7, first 2 shown]
	.loc	1 18 97                         ; attention_bwd.py:18:97
	global_load_ushort v3, v2, s[48:49]
	.loc	1 19 23                         ; attention_bwd.py:19:23
	global_load_ushort v20, v2, s[60:61]
	;; [unrolled: 2-line block ×3, first 2 shown]
	global_load_ushort v8, v2, s[76:77]
	global_load_ushort v11, v2, s[50:51]
	global_load_ushort v9, v2, s[74:75]
	global_load_ushort v7, v2, s[78:79]
	global_load_ushort v6, v2, s[82:83]
	global_load_ushort v4, v2, s[52:53]
	global_load_ushort v5, v2, s[88:89]
	.loc	1 19 23                         ; attention_bwd.py:19:23
	v_readlane_b32 s4, v64, 25
	v_readlane_b32 s5, v64, 26
	.loc	1 18 97                         ; attention_bwd.py:18:97
	global_load_ushort v16, v2, s[22:23]
	global_load_ushort v17, v2, s[98:99]
	;; [unrolled: 1-line block ×4, first 2 shown]
	v_readlane_b32 s22, v63, 3
	.loc	1 19 23                         ; attention_bwd.py:19:23
	global_load_ushort v22, v2, s[4:5]
	v_readlane_b32 s23, v63, 4
	v_readlane_b32 s20, v63, 1
	;; [unrolled: 1-line block ×6, first 2 shown]
	global_load_ushort v61, v2, s[22:23]
	v_readlane_b32 s4, v64, 27
	v_readlane_b32 s5, v64, 28
	s_nop 4
	global_load_ushort v21, v2, s[4:5]
	global_load_ushort v23, v2, s[58:59]
	.loc	1 18 97                         ; attention_bwd.py:18:97
	global_load_ushort v12, v2, s[42:43]
	global_load_ushort v13, v2, s[26:27]
	;; [unrolled: 1-line block ×4, first 2 shown]
	s_mov_b32 s38, s0
	.loc	1 19 23                         ; attention_bwd.py:19:23
	v_readlane_b32 s0, v64, 29
	v_readlane_b32 s1, v64, 30
	global_load_ushort v60, v2, s[20:21]
	v_readlane_b32 s4, v64, 49
	v_readlane_b32 s5, v64, 50
	global_load_ushort v62, v2, s[24:25]
	global_load_ushort v53, v2, s[6:7]
	;; [unrolled: 1-line block ×3, first 2 shown]
	v_readlane_b32 s8, v64, 53
	v_readlane_b32 s9, v64, 54
	;; [unrolled: 1-line block ×7, first 2 shown]
	global_load_ushort v54, v2, s[8:9]
	v_readlane_b32 s15, v64, 60
	global_load_ushort v55, v2, s[10:11]
	v_readlane_b32 s16, v64, 61
	;; [unrolled: 2-line block ×3, first 2 shown]
                                        ; kill: killed $vgpr2
                                        ; kill: killed $sgpr16 killed $sgpr17
                                        ; kill: killed $sgpr8 killed $sgpr9
                                        ; kill: killed $sgpr20 killed $sgpr21
                                        ; kill: killed $sgpr10 killed $sgpr11
                                        ; kill: killed $sgpr22 killed $sgpr23
                                        ; kill: killed $sgpr4 killed $sgpr5
                                        ; kill: killed $sgpr12 killed $sgpr13
                                        ; kill: killed $sgpr24 killed $sgpr25
                                        ; kill: killed $sgpr6 killed $sgpr7
                                        ; kill: killed $sgpr14 killed $sgpr15
	v_readlane_b32 s39, v64, 5
	global_load_ushort v57, v2, s[14:15]
.Ltmp2:
	.file	2 "/root/.local/lib/python3.13/site-packages/triton/language" "standard.py"
	.loc	2 293 36                        ; standard.py:293:36 @[ attention_bwd.py:19:19 ]
	s_bfe_u32 s35, s38, 0x10006
.Ltmp3:
	.loc	1 19 23                         ; attention_bwd.py:19:23
	s_waitcnt vmcnt(36)
	v_lshlrev_b32_e32 v49, 16, v34
	s_waitcnt vmcnt(35)
	v_lshlrev_b32_e32 v50, 16, v36
	;; [unrolled: 2-line block ×4, first 2 shown]
	global_load_ushort v58, v2, s[16:17]
	s_waitcnt vmcnt(33)
	v_lshlrev_b32_e32 v42, 16, v42
	s_waitcnt vmcnt(32)
	v_lshlrev_b32_e32 v43, 16, v43
	.loc	1 18 97                         ; attention_bwd.py:18:97
	v_lshlrev_b32_e32 v45, 16, v24
	.loc	1 19 23                         ; attention_bwd.py:19:23
	v_mul_f32_e32 v40, v49, v45
	.loc	1 18 97                         ; attention_bwd.py:18:97
	v_lshlrev_b32_e32 v47, 16, v26
	v_lshlrev_b32_e32 v46, 16, v25
.Ltmp4:
	.loc	2 293 36                        ; standard.py:293:36 @[ attention_bwd.py:19:19 ]
	v_mov_b32_dpp v40, v40 row_shr:8 row_mask:0xf bank_mask:0xf bound_ctrl:1
.Ltmp5:
	.loc	1 18 97                         ; attention_bwd.py:18:97
	v_lshlrev_b32_e32 v48, 16, v27
	v_lshlrev_b32_e32 v37, 16, v28
	;; [unrolled: 1-line block ×4, first 2 shown]
	global_load_ushort v24, v2, s[86:87]
	global_load_ushort v25, v2, s[92:93]
	;; [unrolled: 1-line block ×4, first 2 shown]
	global_load_ushort v28, v2, vcc
	global_load_ushort v29, v2, s[18:19]
	global_load_ushort v30, v2, s[2:3]
	;; [unrolled: 1-line block ×3, first 2 shown]
.Ltmp6:
	.loc	2 263 15                        ; standard.py:263:15 @[ standard.py:293:36 @[ attention_bwd.py:19:19 ] ]
	v_fmac_f32_e32 v40, v49, v45
.Ltmp7:
	.loc	1 19 23                         ; attention_bwd.py:19:23
	v_mul_f32_e32 v45, v51, v47
	v_readlane_b32 s2, v64, 47
	v_mul_f32_e32 v41, v50, v46
.Ltmp8:
	.loc	2 293 36                        ; standard.py:293:36 @[ attention_bwd.py:19:19 ]
	v_mov_b32_dpp v45, v45 row_shr:8 row_mask:0xf bank_mask:0xf bound_ctrl:1
	v_readlane_b32 s3, v64, 48
	v_mov_b32_dpp v41, v41 row_shr:8 row_mask:0xf bank_mask:0xf bound_ctrl:1
.Ltmp9:
	.loc	2 263 15                        ; standard.py:263:15 @[ standard.py:293:36 @[ attention_bwd.py:19:19 ] ]
	v_fmac_f32_e32 v45, v51, v47
	v_fmac_f32_e32 v41, v50, v46
.Ltmp10:
	.loc	1 19 23                         ; attention_bwd.py:19:23
	v_mul_f32_e32 v46, v52, v48
	v_readlane_b32 s18, v64, 63
	global_load_ushort v51, v2, s[2:3]
	v_readlane_b32 s0, v64, 31
	v_readlane_b32 s1, v64, 32
.Ltmp11:
	.loc	2 293 36                        ; standard.py:293:36 @[ attention_bwd.py:19:19 ]
	v_mov_b32_dpp v46, v46 row_shr:8 row_mask:0xf bank_mask:0xf bound_ctrl:1
.Ltmp12:
	.loc	2 263 15                        ; standard.py:263:15 @[ standard.py:293:36 @[ attention_bwd.py:19:19 ] ]
	v_fmac_f32_e32 v46, v52, v48
.Ltmp13:
	.loc	1 19 23                         ; attention_bwd.py:19:23
	global_load_ushort v52, v2, s[4:5]
	v_readlane_b32 s19, v63, 0
	s_waitcnt vmcnt(41)
	v_lshlrev_b32_e32 v44, 16, v44
	global_load_ushort v32, v2, s[0:1]
	v_readlane_b32 s0, v64, 33
	v_readlane_b32 s1, v64, 34
	.loc	1 18 97                         ; attention_bwd.py:18:97
	s_waitcnt vmcnt(41)
	v_lshlrev_b32_e32 v3, 16, v3
	.loc	1 19 23                         ; attention_bwd.py:19:23
	global_load_ushort v59, v2, s[18:19]
	s_waitcnt vmcnt(41)
	v_lshlrev_b32_e32 v20, 16, v20
                                        ; kill: killed $sgpr18 killed $sgpr19
                                        ; kill: killed $sgpr2 killed $sgpr3
.Ltmp14:
	.loc	2 293 36                        ; standard.py:293:36 @[ attention_bwd.py:19:19 ]
	v_cmp_eq_u32_e32 vcc, 0, v1
.Ltmp15:
	.loc	1 19 23                         ; attention_bwd.py:19:23
	global_load_ushort v33, v2, s[0:1]
	v_readlane_b32 s0, v64, 35
	v_readlane_b32 s1, v64, 36
	s_nop 4
	global_load_ushort v34, v2, s[0:1]
	v_readlane_b32 s0, v64, 37
	v_readlane_b32 s1, v64, 38
	s_nop 4
	;; [unrolled: 4-line block ×5, first 2 shown]
	global_load_ushort v49, v2, s[0:1]
	v_readlane_b32 s0, v64, 45
	v_readlane_b32 s1, v64, 46
                                        ; kill: killed $sgpr0 killed $sgpr1
	s_nop 4
	global_load_ushort v50, v2, s[0:1]
	v_mul_f32_e32 v2, v42, v37
.Ltmp16:
	.loc	2 293 36                        ; standard.py:293:36 @[ attention_bwd.py:19:19 ]
	s_nop 1
	v_mov_b32_dpp v2, v2 row_shr:8 row_mask:0xf bank_mask:0xf bound_ctrl:1
.Ltmp17:
	.loc	2 263 15                        ; standard.py:263:15 @[ standard.py:293:36 @[ attention_bwd.py:19:19 ] ]
	v_fmac_f32_e32 v2, v42, v37
.Ltmp18:
	.loc	1 19 23                         ; attention_bwd.py:19:23
	v_mul_f32_e32 v37, v43, v39
	s_waitcnt vmcnt(22)
	v_lshlrev_b32_e32 v42, 16, v55
.Ltmp19:
	.loc	2 263 15                        ; standard.py:263:15 @[ standard.py:293:36 @[ attention_bwd.py:19:19 ] ]
	v_add_f32_dpp v2, v2, v2 row_shr:4 row_mask:0xf bank_mask:0xf bound_ctrl:1
.Ltmp20:
	.loc	2 293 36                        ; standard.py:293:36 @[ attention_bwd.py:19:19 ]
	v_mov_b32_dpp v37, v37 row_shr:8 row_mask:0xf bank_mask:0xf bound_ctrl:1
.Ltmp21:
	.loc	2 263 15                        ; standard.py:263:15 @[ standard.py:293:36 @[ attention_bwd.py:19:19 ] ]
	v_fmac_f32_e32 v37, v43, v39
.Ltmp22:
	.loc	1 19 23                         ; attention_bwd.py:19:23
	v_mul_f32_e32 v39, v44, v38
.Ltmp23:
	.loc	2 263 15                        ; standard.py:263:15 @[ standard.py:293:36 @[ attention_bwd.py:19:19 ] ]
	v_add_f32_dpp v2, v2, v2 row_shr:2 row_mask:0xf bank_mask:0xf bound_ctrl:1
.Ltmp24:
	.loc	1 19 23                         ; attention_bwd.py:19:23
	s_waitcnt vmcnt(21)
	v_lshlrev_b32_e32 v43, 16, v56
.Ltmp25:
	.loc	2 293 36                        ; standard.py:293:36 @[ attention_bwd.py:19:19 ]
	v_mov_b32_dpp v39, v39 row_shr:8 row_mask:0xf bank_mask:0xf bound_ctrl:1
.Ltmp26:
	.loc	2 263 15                        ; standard.py:263:15 @[ standard.py:293:36 @[ attention_bwd.py:19:19 ] ]
	v_fmac_f32_e32 v39, v44, v38
.Ltmp27:
	.loc	1 19 23                         ; attention_bwd.py:19:23
	v_mul_f32_e32 v38, v20, v3
.Ltmp28:
	.loc	2 263 15                        ; standard.py:263:15 @[ standard.py:293:36 @[ attention_bwd.py:19:19 ] ]
	v_add_f32_dpp v2, v2, v2 row_shr:1 row_mask:0xf bank_mask:0xf bound_ctrl:1
.Ltmp29:
	.loc	1 19 23                         ; attention_bwd.py:19:23
	s_waitcnt vmcnt(20)
	v_lshlrev_b32_e32 v44, 16, v57
.Ltmp30:
	.loc	2 293 36                        ; standard.py:293:36 @[ attention_bwd.py:19:19 ]
	v_mov_b32_dpp v38, v38 row_shr:8 row_mask:0xf bank_mask:0xf bound_ctrl:1
.Ltmp31:
	.loc	2 263 15                        ; standard.py:263:15 @[ standard.py:293:36 @[ attention_bwd.py:19:19 ] ]
	v_fmac_f32_e32 v38, v20, v3
.Ltmp32:
	.loc	1 18 97                         ; attention_bwd.py:18:97
	v_lshlrev_b32_e32 v3, 16, v10
	.loc	1 19 23                         ; attention_bwd.py:19:23
	v_lshlrev_b32_e32 v10, 16, v22
	v_mul_f32_e32 v20, v10, v3
	.loc	1 18 97                         ; attention_bwd.py:18:97
	s_waitcnt vmcnt(15)
	v_lshlrev_b32_e32 v22, 16, v27
	.loc	1 19 23                         ; attention_bwd.py:19:23
	s_waitcnt vmcnt(5)
	v_lshlrev_b32_e32 v27, 16, v34
.Ltmp33:
	.loc	2 293 36                        ; standard.py:293:36 @[ attention_bwd.py:19:19 ]
	v_mov_b32_dpp v20, v20 row_shr:8 row_mask:0xf bank_mask:0xf bound_ctrl:1
.Ltmp34:
	.loc	2 263 15                        ; standard.py:263:15 @[ standard.py:293:36 @[ attention_bwd.py:19:19 ] ]
	v_fmac_f32_e32 v20, v10, v3
.Ltmp35:
	.loc	1 18 97                         ; attention_bwd.py:18:97
	v_lshlrev_b32_e32 v3, 16, v8
	.loc	1 19 23                         ; attention_bwd.py:19:23
	v_lshlrev_b32_e32 v8, 16, v21
	v_mul_f32_e32 v10, v8, v3
	v_lshlrev_b32_e32 v34, 16, v52
	.loc	1 18 97                         ; attention_bwd.py:18:97
	v_lshlrev_b32_e32 v21, 16, v26
.Ltmp36:
	.loc	2 293 36                        ; standard.py:293:36 @[ attention_bwd.py:19:19 ]
	v_mov_b32_dpp v10, v10 row_shr:8 row_mask:0xf bank_mask:0xf bound_ctrl:1
.Ltmp37:
	.loc	2 263 15                        ; standard.py:263:15 @[ standard.py:293:36 @[ attention_bwd.py:19:19 ] ]
	v_fmac_f32_e32 v10, v8, v3
.Ltmp38:
	.loc	1 18 97                         ; attention_bwd.py:18:97
	v_lshlrev_b32_e32 v3, 16, v11
	.loc	1 19 23                         ; attention_bwd.py:19:23
	v_lshlrev_b32_e32 v8, 16, v23
	v_mul_f32_e32 v11, v8, v3
	.loc	1 18 97                         ; attention_bwd.py:18:97
	v_lshlrev_b32_e32 v23, 16, v28
	.loc	1 19 23                         ; attention_bwd.py:19:23
	s_waitcnt vmcnt(4)
	v_lshlrev_b32_e32 v28, 16, v36
.Ltmp39:
	.loc	2 293 36                        ; standard.py:293:36 @[ attention_bwd.py:19:19 ]
	v_mov_b32_dpp v11, v11 row_shr:8 row_mask:0xf bank_mask:0xf bound_ctrl:1
.Ltmp40:
	.loc	2 263 15                        ; standard.py:263:15 @[ standard.py:293:36 @[ attention_bwd.py:19:19 ] ]
	v_fmac_f32_e32 v11, v8, v3
.Ltmp41:
	.loc	1 18 97                         ; attention_bwd.py:18:97
	v_lshlrev_b32_e32 v3, 16, v9
	.loc	1 19 23                         ; attention_bwd.py:19:23
	v_lshlrev_b32_e32 v8, 16, v35
	v_mul_f32_e32 v9, v8, v3
	.loc	1 18 97                         ; attention_bwd.py:18:97
	v_lshlrev_b32_e32 v26, 16, v31
	.loc	1 19 23                         ; attention_bwd.py:19:23
	v_lshlrev_b32_e32 v35, 16, v53
.Ltmp42:
	.loc	2 293 36                        ; standard.py:293:36 @[ attention_bwd.py:19:19 ]
	v_mov_b32_dpp v9, v9 row_shr:8 row_mask:0xf bank_mask:0xf bound_ctrl:1
.Ltmp43:
	.loc	2 263 15                        ; standard.py:263:15 @[ standard.py:293:36 @[ attention_bwd.py:19:19 ] ]
	v_fmac_f32_e32 v9, v8, v3
.Ltmp44:
	.loc	1 18 97                         ; attention_bwd.py:18:97
	v_lshlrev_b32_e32 v3, 16, v7
	.loc	1 19 23                         ; attention_bwd.py:19:23
	v_lshlrev_b32_e32 v7, 16, v32
	v_mul_f32_e32 v8, v7, v3
	v_lshlrev_b32_e32 v36, 16, v54
	s_waitcnt vmcnt(1)
	v_lshlrev_b32_e32 v31, 16, v49
.Ltmp45:
	.loc	2 293 36                        ; standard.py:293:36 @[ attention_bwd.py:19:19 ]
	v_mov_b32_dpp v8, v8 row_shr:8 row_mask:0xf bank_mask:0xf bound_ctrl:1
.Ltmp46:
	.loc	2 263 15                        ; standard.py:263:15 @[ standard.py:293:36 @[ attention_bwd.py:19:19 ] ]
	v_fmac_f32_e32 v8, v7, v3
.Ltmp47:
	.loc	1 18 97                         ; attention_bwd.py:18:97
	v_lshlrev_b32_e32 v3, 16, v6
	.loc	1 19 23                         ; attention_bwd.py:19:23
	v_lshlrev_b32_e32 v6, 16, v33
	v_mul_f32_e32 v7, v6, v3
	v_lshlrev_b32_e32 v33, 16, v51
	v_lshlrev_b32_e32 v49, 16, v60
.Ltmp48:
	.loc	2 293 36                        ; standard.py:293:36 @[ attention_bwd.py:19:19 ]
	v_mov_b32_dpp v7, v7 row_shr:8 row_mask:0xf bank_mask:0xf bound_ctrl:1
.Ltmp49:
	.loc	2 263 15                        ; standard.py:263:15 @[ standard.py:293:36 @[ attention_bwd.py:19:19 ] ]
	v_fmac_f32_e32 v7, v6, v3
.Ltmp50:
	.loc	1 18 97                         ; attention_bwd.py:18:97
	v_lshlrev_b32_e32 v3, 16, v4
	.loc	1 19 23                         ; attention_bwd.py:19:23
	v_mul_f32_e32 v52, v27, v3
	.loc	1 18 97                         ; attention_bwd.py:18:97
	v_lshlrev_b32_e32 v4, 16, v5
	v_lshlrev_b32_e32 v5, 16, v12
.Ltmp51:
	.loc	2 293 36                        ; standard.py:293:36 @[ attention_bwd.py:19:19 ]
	v_mov_b32_dpp v52, v52 row_shr:8 row_mask:0xf bank_mask:0xf bound_ctrl:1
.Ltmp52:
	.loc	2 263 15                        ; standard.py:263:15 @[ standard.py:293:36 @[ attention_bwd.py:19:19 ] ]
	v_fmac_f32_e32 v52, v27, v3
.Ltmp53:
	.loc	1 19 23                         ; attention_bwd.py:19:23
	v_mul_f32_e32 v3, v28, v4
.Ltmp54:
	.loc	2 263 15                        ; standard.py:263:15 @[ standard.py:293:36 @[ attention_bwd.py:19:19 ] ]
	v_add_f32_dpp v27, v40, v40 row_shr:4 row_mask:0xf bank_mask:0xf bound_ctrl:1
.Ltmp55:
	.loc	1 18 97                         ; attention_bwd.py:18:97
	v_lshlrev_b32_e32 v12, 16, v14
.Ltmp56:
	.loc	2 293 36                        ; standard.py:293:36 @[ attention_bwd.py:19:19 ]
	v_mov_b32_dpp v3, v3 row_shr:8 row_mask:0xf bank_mask:0xf bound_ctrl:1
.Ltmp57:
	.loc	2 263 15                        ; standard.py:263:15 @[ standard.py:293:36 @[ attention_bwd.py:19:19 ] ]
	v_fmac_f32_e32 v3, v28, v4
	v_add_f32_dpp v27, v27, v27 row_shr:2 row_mask:0xf bank_mask:0xf bound_ctrl:1
.Ltmp58:
	.loc	1 18 97                         ; attention_bwd.py:18:97
	v_lshlrev_b32_e32 v14, 16, v16
.Ltmp59:
	.loc	2 263 15                        ; standard.py:263:15 @[ standard.py:293:36 @[ attention_bwd.py:19:19 ] ]
	v_add_f32_dpp v3, v3, v3 row_shr:4 row_mask:0xf bank_mask:0xf bound_ctrl:1
	v_add_f32_dpp v27, v27, v27 row_shr:1 row_mask:0xf bank_mask:0xf bound_ctrl:1
.Ltmp60:
	.loc	2 293 36                        ; standard.py:293:36 @[ attention_bwd.py:19:19 ]
	v_mov_b32_e32 v40, v27
.Ltmp61:
	.loc	2 263 15                        ; standard.py:263:15 @[ standard.py:293:36 @[ attention_bwd.py:19:19 ] ]
	v_add_f32_dpp v3, v3, v3 row_shr:2 row_mask:0xf bank_mask:0xf bound_ctrl:1
.Ltmp62:
	.loc	1 18 97                         ; attention_bwd.py:18:97
	v_lshlrev_b32_e32 v16, 16, v18
	v_lshlrev_b32_e32 v18, 16, v24
.Ltmp63:
	.loc	2 263 15                        ; standard.py:263:15 @[ standard.py:293:36 @[ attention_bwd.py:19:19 ] ]
	v_add_f32_dpp v3, v3, v3 row_shr:1 row_mask:0xf bank_mask:0xf bound_ctrl:1
.Ltmp64:
	.loc	2 293 36                        ; standard.py:293:36 @[ attention_bwd.py:19:19 ]
	v_mov_b32_e32 v4, v3
.Ltmp65:
	.loc	1 18 97                         ; attention_bwd.py:18:97
	v_lshlrev_b32_e32 v24, 16, v29
	.loc	1 19 23                         ; attention_bwd.py:19:23
	v_lshlrev_b32_e32 v29, 16, v47
.Ltmp66:
	.loc	2 293 36                        ; standard.py:293:36 @[ attention_bwd.py:19:19 ]
	v_mov_b32_dpp v4, v4 row_bcast:15 row_mask:0xa bank_mask:0xf bound_ctrl:1
	v_mov_b32_dpp v40, v40 row_bcast:15 row_mask:0xa bank_mask:0xf bound_ctrl:1
.Ltmp67:
	.loc	2 263 15                        ; standard.py:263:15 @[ standard.py:293:36 @[ attention_bwd.py:19:19 ] ]
	v_add_f32_e32 v3, v3, v4
	v_add_f32_e32 v27, v27, v40
.Ltmp68:
	.loc	1 19 23                         ; attention_bwd.py:19:23
	v_mul_f32_e32 v40, v29, v5
.Ltmp69:
	.loc	2 263 15                        ; standard.py:263:15 @[ standard.py:293:36 @[ attention_bwd.py:19:19 ] ]
	v_add_f32_dpp v3, v3, v3 row_bcast:31 row_mask:0xf bank_mask:0xf bound_ctrl:1
	v_add_f32_dpp v27, v27, v27 row_bcast:31 row_mask:0xf bank_mask:0xf bound_ctrl:1
.Ltmp70:
	.loc	2 293 36                        ; standard.py:293:36 @[ attention_bwd.py:19:19 ]
	v_readlane_b32 s18, v3, 63
	v_mov_b32_dpp v3, v40 row_shr:8 row_mask:0xf bank_mask:0xf bound_ctrl:1
.Ltmp71:
	.loc	2 263 15                        ; standard.py:263:15 @[ standard.py:293:36 @[ attention_bwd.py:19:19 ] ]
	v_fmac_f32_e32 v3, v29, v5
.Ltmp72:
	.loc	2 293 36                        ; standard.py:293:36 @[ attention_bwd.py:19:19 ]
	v_readlane_b32 s2, v27, 63
.Ltmp73:
	.loc	2 263 15                        ; standard.py:263:15 @[ standard.py:293:36 @[ attention_bwd.py:19:19 ] ]
	v_add_f32_dpp v27, v41, v41 row_shr:4 row_mask:0xf bank_mask:0xf bound_ctrl:1
	v_add_f32_dpp v3, v3, v3 row_shr:4 row_mask:0xf bank_mask:0xf bound_ctrl:1
.Ltmp74:
	.loc	1 18 97                         ; attention_bwd.py:18:97
	v_lshlrev_b32_e32 v6, 16, v13
.Ltmp75:
	.loc	2 263 15                        ; standard.py:263:15 @[ standard.py:293:36 @[ attention_bwd.py:19:19 ] ]
	v_add_f32_dpp v27, v27, v27 row_shr:2 row_mask:0xf bank_mask:0xf bound_ctrl:1
	v_add_f32_dpp v3, v3, v3 row_shr:2 row_mask:0xf bank_mask:0xf bound_ctrl:1
.Ltmp76:
	.loc	1 18 97                         ; attention_bwd.py:18:97
	v_lshlrev_b32_e32 v13, 16, v15
.Ltmp77:
	.loc	2 263 15                        ; standard.py:263:15 @[ standard.py:293:36 @[ attention_bwd.py:19:19 ] ]
	v_add_f32_dpp v27, v27, v27 row_shr:1 row_mask:0xf bank_mask:0xf bound_ctrl:1
	v_add_f32_dpp v3, v3, v3 row_shr:1 row_mask:0xf bank_mask:0xf bound_ctrl:1
.Ltmp78:
	.loc	2 293 36                        ; standard.py:293:36 @[ attention_bwd.py:19:19 ]
	v_mov_b32_e32 v4, v3
	v_mov_b32_e32 v41, v27
.Ltmp79:
	.loc	1 18 97                         ; attention_bwd.py:18:97
	v_lshlrev_b32_e32 v15, 16, v17
.Ltmp80:
	.loc	2 293 36                        ; standard.py:293:36 @[ attention_bwd.py:19:19 ]
	v_mov_b32_dpp v4, v4 row_bcast:15 row_mask:0xa bank_mask:0xf bound_ctrl:1
.Ltmp81:
	.loc	1 18 97                         ; attention_bwd.py:18:97
	v_lshlrev_b32_e32 v17, 16, v19
	v_lshlrev_b32_e32 v19, 16, v25
	;; [unrolled: 1-line block ×3, first 2 shown]
	.loc	1 19 23                         ; attention_bwd.py:19:23
	v_lshlrev_b32_e32 v30, 16, v48
.Ltmp82:
	.loc	2 293 36                        ; standard.py:293:36 @[ attention_bwd.py:19:19 ]
	v_mov_b32_dpp v41, v41 row_bcast:15 row_mask:0xa bank_mask:0xf bound_ctrl:1
.Ltmp83:
	.loc	2 263 15                        ; standard.py:263:15 @[ standard.py:293:36 @[ attention_bwd.py:19:19 ] ]
	v_add_f32_e32 v3, v3, v4
	v_add_f32_e32 v27, v27, v41
.Ltmp84:
	.loc	1 19 23                         ; attention_bwd.py:19:23
	v_mul_f32_e32 v41, v30, v6
.Ltmp85:
	.loc	2 263 15                        ; standard.py:263:15 @[ standard.py:293:36 @[ attention_bwd.py:19:19 ] ]
	v_add_f32_dpp v3, v3, v3 row_bcast:31 row_mask:0xf bank_mask:0xf bound_ctrl:1
	v_add_f32_dpp v27, v27, v27 row_bcast:31 row_mask:0xf bank_mask:0xf bound_ctrl:1
.Ltmp86:
	.loc	2 293 36                        ; standard.py:293:36 @[ attention_bwd.py:19:19 ]
	v_readlane_b32 s17, v3, 63
	v_mov_b32_dpp v3, v41 row_shr:8 row_mask:0xf bank_mask:0xf bound_ctrl:1
.Ltmp87:
	.loc	2 263 15                        ; standard.py:263:15 @[ standard.py:293:36 @[ attention_bwd.py:19:19 ] ]
	v_fmac_f32_e32 v3, v30, v6
.Ltmp88:
	.loc	2 293 36                        ; standard.py:293:36 @[ attention_bwd.py:19:19 ]
	v_readlane_b32 s8, v27, 63
.Ltmp89:
	.loc	2 263 15                        ; standard.py:263:15 @[ standard.py:293:36 @[ attention_bwd.py:19:19 ] ]
	v_add_f32_dpp v27, v45, v45 row_shr:4 row_mask:0xf bank_mask:0xf bound_ctrl:1
	v_add_f32_dpp v3, v3, v3 row_shr:4 row_mask:0xf bank_mask:0xf bound_ctrl:1
.Ltmp90:
	.loc	1 19 23                         ; attention_bwd.py:19:23
	s_waitcnt vmcnt(0)
	v_lshlrev_b32_e32 v32, 16, v50
.Ltmp91:
	.loc	2 263 15                        ; standard.py:263:15 @[ standard.py:293:36 @[ attention_bwd.py:19:19 ] ]
	v_add_f32_dpp v27, v27, v27 row_shr:2 row_mask:0xf bank_mask:0xf bound_ctrl:1
	v_add_f32_dpp v3, v3, v3 row_shr:2 row_mask:0xf bank_mask:0xf bound_ctrl:1
.Ltmp92:
	.loc	1 19 23                         ; attention_bwd.py:19:23
	v_lshlrev_b32_e32 v47, 16, v58
.Ltmp93:
	.loc	2 263 15                        ; standard.py:263:15 @[ standard.py:293:36 @[ attention_bwd.py:19:19 ] ]
	v_add_f32_dpp v27, v27, v27 row_shr:1 row_mask:0xf bank_mask:0xf bound_ctrl:1
	v_add_f32_dpp v3, v3, v3 row_shr:1 row_mask:0xf bank_mask:0xf bound_ctrl:1
.Ltmp94:
	.loc	2 293 36                        ; standard.py:293:36 @[ attention_bwd.py:19:19 ]
	v_mov_b32_e32 v4, v3
	v_mov_b32_e32 v45, v27
.Ltmp95:
	.loc	1 19 23                         ; attention_bwd.py:19:23
	v_lshlrev_b32_e32 v48, 16, v59
.Ltmp96:
	.loc	2 293 36                        ; standard.py:293:36 @[ attention_bwd.py:19:19 ]
	v_mov_b32_dpp v4, v4 row_bcast:15 row_mask:0xa bank_mask:0xf bound_ctrl:1
	v_mov_b32_dpp v45, v45 row_bcast:15 row_mask:0xa bank_mask:0xf bound_ctrl:1
.Ltmp97:
	.loc	2 263 15                        ; standard.py:263:15 @[ standard.py:293:36 @[ attention_bwd.py:19:19 ] ]
	v_add_f32_e32 v3, v3, v4
	v_add_f32_e32 v27, v27, v45
.Ltmp98:
	.loc	1 19 23                         ; attention_bwd.py:19:23
	v_mul_f32_e32 v45, v31, v12
.Ltmp99:
	.loc	2 263 15                        ; standard.py:263:15 @[ standard.py:293:36 @[ attention_bwd.py:19:19 ] ]
	v_add_f32_dpp v3, v3, v3 row_bcast:31 row_mask:0xf bank_mask:0xf bound_ctrl:1
	v_add_f32_dpp v27, v27, v27 row_bcast:31 row_mask:0xf bank_mask:0xf bound_ctrl:1
.Ltmp100:
	.loc	2 293 36                        ; standard.py:293:36 @[ attention_bwd.py:19:19 ]
	v_readlane_b32 s20, v3, 63
	v_mov_b32_dpp v3, v45 row_shr:8 row_mask:0xf bank_mask:0xf bound_ctrl:1
.Ltmp101:
	.loc	2 263 15                        ; standard.py:263:15 @[ standard.py:293:36 @[ attention_bwd.py:19:19 ] ]
	v_fmac_f32_e32 v3, v31, v12
.Ltmp102:
	.loc	2 293 36                        ; standard.py:293:36 @[ attention_bwd.py:19:19 ]
	v_readlane_b32 s3, v27, 63
.Ltmp103:
	.loc	2 263 15                        ; standard.py:263:15 @[ standard.py:293:36 @[ attention_bwd.py:19:19 ] ]
	v_add_f32_dpp v27, v46, v46 row_shr:4 row_mask:0xf bank_mask:0xf bound_ctrl:1
	v_add_f32_dpp v3, v3, v3 row_shr:4 row_mask:0xf bank_mask:0xf bound_ctrl:1
.Ltmp104:
	.loc	1 19 23                         ; attention_bwd.py:19:23
	v_lshlrev_b32_e32 v50, 16, v61
.Ltmp105:
	.loc	2 263 15                        ; standard.py:263:15 @[ standard.py:293:36 @[ attention_bwd.py:19:19 ] ]
	v_add_f32_dpp v27, v27, v27 row_shr:2 row_mask:0xf bank_mask:0xf bound_ctrl:1
	v_add_f32_dpp v3, v3, v3 row_shr:2 row_mask:0xf bank_mask:0xf bound_ctrl:1
.Ltmp106:
	.loc	1 19 23                         ; attention_bwd.py:19:23
	v_lshlrev_b32_e32 v51, 16, v62
.Ltmp107:
	.loc	2 263 15                        ; standard.py:263:15 @[ standard.py:293:36 @[ attention_bwd.py:19:19 ] ]
	v_add_f32_dpp v27, v27, v27 row_shr:1 row_mask:0xf bank_mask:0xf bound_ctrl:1
	v_add_f32_dpp v3, v3, v3 row_shr:1 row_mask:0xf bank_mask:0xf bound_ctrl:1
.Ltmp108:
	.loc	2 293 36                        ; standard.py:293:36 @[ attention_bwd.py:19:19 ]
	v_mov_b32_e32 v4, v3
	v_mov_b32_e32 v46, v27
	s_nop 0
	v_mov_b32_dpp v4, v4 row_bcast:15 row_mask:0xa bank_mask:0xf bound_ctrl:1
	v_mov_b32_dpp v46, v46 row_bcast:15 row_mask:0xa bank_mask:0xf bound_ctrl:1
.Ltmp109:
	.loc	2 263 15                        ; standard.py:263:15 @[ standard.py:293:36 @[ attention_bwd.py:19:19 ] ]
	v_add_f32_e32 v3, v3, v4
	v_add_f32_e32 v27, v27, v46
.Ltmp110:
	.loc	1 19 23                         ; attention_bwd.py:19:23
	v_mul_f32_e32 v46, v32, v13
.Ltmp111:
	.loc	2 263 15                        ; standard.py:263:15 @[ standard.py:293:36 @[ attention_bwd.py:19:19 ] ]
	v_add_f32_dpp v3, v3, v3 row_bcast:31 row_mask:0xf bank_mask:0xf bound_ctrl:1
	v_add_f32_dpp v27, v27, v27 row_bcast:31 row_mask:0xf bank_mask:0xf bound_ctrl:1
.Ltmp112:
	.loc	2 293 36                        ; standard.py:293:36 @[ attention_bwd.py:19:19 ]
	v_readlane_b32 s19, v3, 63
	v_mov_b32_dpp v3, v46 row_shr:8 row_mask:0xf bank_mask:0xf bound_ctrl:1
.Ltmp113:
	.loc	2 263 15                        ; standard.py:263:15 @[ standard.py:293:36 @[ attention_bwd.py:19:19 ] ]
	v_fmac_f32_e32 v3, v32, v13
.Ltmp114:
	.loc	2 293 36                        ; standard.py:293:36 @[ attention_bwd.py:19:19 ]
	v_readlane_b32 s10, v27, 63
	v_mov_b32_e32 v27, v2
.Ltmp115:
	.loc	2 263 15                        ; standard.py:263:15 @[ standard.py:293:36 @[ attention_bwd.py:19:19 ] ]
	v_add_f32_dpp v3, v3, v3 row_shr:4 row_mask:0xf bank_mask:0xf bound_ctrl:1
.Ltmp116:
	.loc	2 293 36                        ; standard.py:293:36 @[ attention_bwd.py:19:19 ]
	s_nop 0
	v_mov_b32_dpp v27, v27 row_bcast:15 row_mask:0xa bank_mask:0xf bound_ctrl:1
.Ltmp117:
	.loc	2 263 15                        ; standard.py:263:15 @[ standard.py:293:36 @[ attention_bwd.py:19:19 ] ]
	v_add_f32_dpp v3, v3, v3 row_shr:2 row_mask:0xf bank_mask:0xf bound_ctrl:1
	v_add_f32_e32 v2, v2, v27
.Ltmp118:
	.loc	1 19 23                         ; attention_bwd.py:19:23
	v_mul_f32_e32 v27, v33, v14
.Ltmp119:
	.loc	2 263 15                        ; standard.py:263:15 @[ standard.py:293:36 @[ attention_bwd.py:19:19 ] ]
	v_add_f32_dpp v3, v3, v3 row_shr:1 row_mask:0xf bank_mask:0xf bound_ctrl:1
.Ltmp120:
	.loc	2 293 36                        ; standard.py:293:36 @[ attention_bwd.py:19:19 ]
	v_mov_b32_e32 v4, v3
.Ltmp121:
	.loc	2 263 15                        ; standard.py:263:15 @[ standard.py:293:36 @[ attention_bwd.py:19:19 ] ]
	v_add_f32_dpp v2, v2, v2 row_bcast:31 row_mask:0xf bank_mask:0xf bound_ctrl:1
.Ltmp122:
	.loc	2 293 36                        ; standard.py:293:36 @[ attention_bwd.py:19:19 ]
	s_nop 0
	v_mov_b32_dpp v4, v4 row_bcast:15 row_mask:0xa bank_mask:0xf bound_ctrl:1
.Ltmp123:
	.loc	2 263 15                        ; standard.py:263:15 @[ standard.py:293:36 @[ attention_bwd.py:19:19 ] ]
	v_add_f32_e32 v3, v3, v4
.Ltmp124:
	.loc	2 293 36                        ; standard.py:293:36 @[ attention_bwd.py:19:19 ]
	v_readlane_b32 s4, v2, 63
.Ltmp125:
	.loc	2 263 15                        ; standard.py:263:15 @[ standard.py:293:36 @[ attention_bwd.py:19:19 ] ]
	v_add_f32_dpp v2, v37, v37 row_shr:4 row_mask:0xf bank_mask:0xf bound_ctrl:1
	v_add_f32_dpp v3, v3, v3 row_bcast:31 row_mask:0xf bank_mask:0xf bound_ctrl:1
.Ltmp126:
	.loc	2 293 36                        ; standard.py:293:36 @[ attention_bwd.py:19:19 ]
	s_nop 0
	v_readlane_b32 s22, v3, 63
	v_mov_b32_dpp v3, v27 row_shr:8 row_mask:0xf bank_mask:0xf bound_ctrl:1
.Ltmp127:
	.loc	2 263 15                        ; standard.py:263:15 @[ standard.py:293:36 @[ attention_bwd.py:19:19 ] ]
	v_fmac_f32_e32 v3, v33, v14
	v_add_f32_dpp v2, v2, v2 row_shr:2 row_mask:0xf bank_mask:0xf bound_ctrl:1
	s_nop 0
	v_add_f32_dpp v3, v3, v3 row_shr:4 row_mask:0xf bank_mask:0xf bound_ctrl:1
	v_add_f32_dpp v2, v2, v2 row_shr:1 row_mask:0xf bank_mask:0xf bound_ctrl:1
.Ltmp128:
	.loc	2 293 36                        ; standard.py:293:36 @[ attention_bwd.py:19:19 ]
	v_mov_b32_e32 v37, v2
.Ltmp129:
	.loc	2 263 15                        ; standard.py:263:15 @[ standard.py:293:36 @[ attention_bwd.py:19:19 ] ]
	v_add_f32_dpp v3, v3, v3 row_shr:2 row_mask:0xf bank_mask:0xf bound_ctrl:1
.Ltmp130:
	.loc	2 293 36                        ; standard.py:293:36 @[ attention_bwd.py:19:19 ]
	s_nop 0
	v_mov_b32_dpp v37, v37 row_bcast:15 row_mask:0xa bank_mask:0xf bound_ctrl:1
.Ltmp131:
	.loc	2 263 15                        ; standard.py:263:15 @[ standard.py:293:36 @[ attention_bwd.py:19:19 ] ]
	v_add_f32_dpp v3, v3, v3 row_shr:1 row_mask:0xf bank_mask:0xf bound_ctrl:1
.Ltmp132:
	.loc	2 293 36                        ; standard.py:293:36 @[ attention_bwd.py:19:19 ]
	v_mov_b32_e32 v4, v3
.Ltmp133:
	.loc	2 263 15                        ; standard.py:263:15 @[ standard.py:293:36 @[ attention_bwd.py:19:19 ] ]
	v_add_f32_e32 v2, v2, v37
.Ltmp134:
	.loc	1 19 23                         ; attention_bwd.py:19:23
	v_mul_f32_e32 v37, v34, v15
.Ltmp135:
	.loc	2 293 36                        ; standard.py:293:36 @[ attention_bwd.py:19:19 ]
	v_mov_b32_dpp v4, v4 row_bcast:15 row_mask:0xa bank_mask:0xf bound_ctrl:1
.Ltmp136:
	.loc	2 263 15                        ; standard.py:263:15 @[ standard.py:293:36 @[ attention_bwd.py:19:19 ] ]
	v_add_f32_e32 v3, v3, v4
	v_add_f32_dpp v2, v2, v2 row_bcast:31 row_mask:0xf bank_mask:0xf bound_ctrl:1
	s_nop 0
	v_add_f32_dpp v3, v3, v3 row_bcast:31 row_mask:0xf bank_mask:0xf bound_ctrl:1
.Ltmp137:
	.loc	2 293 36                        ; standard.py:293:36 @[ attention_bwd.py:19:19 ]
	v_readlane_b32 s12, v2, 63
	v_readlane_b32 s21, v3, 63
	v_mov_b32_dpp v3, v37 row_shr:8 row_mask:0xf bank_mask:0xf bound_ctrl:1
.Ltmp138:
	.loc	2 263 15                        ; standard.py:263:15 @[ standard.py:293:36 @[ attention_bwd.py:19:19 ] ]
	v_fmac_f32_e32 v3, v34, v15
	v_add_f32_dpp v2, v39, v39 row_shr:4 row_mask:0xf bank_mask:0xf bound_ctrl:1
	s_nop 0
	v_add_f32_dpp v3, v3, v3 row_shr:4 row_mask:0xf bank_mask:0xf bound_ctrl:1
	v_add_f32_dpp v2, v2, v2 row_shr:2 row_mask:0xf bank_mask:0xf bound_ctrl:1
	s_nop 0
	v_add_f32_dpp v3, v3, v3 row_shr:2 row_mask:0xf bank_mask:0xf bound_ctrl:1
	v_add_f32_dpp v2, v2, v2 row_shr:1 row_mask:0xf bank_mask:0xf bound_ctrl:1
.Ltmp139:
	.loc	2 293 36                        ; standard.py:293:36 @[ attention_bwd.py:19:19 ]
	v_mov_b32_e32 v39, v2
.Ltmp140:
	.loc	2 263 15                        ; standard.py:263:15 @[ standard.py:293:36 @[ attention_bwd.py:19:19 ] ]
	v_add_f32_dpp v3, v3, v3 row_shr:1 row_mask:0xf bank_mask:0xf bound_ctrl:1
.Ltmp141:
	.loc	2 293 36                        ; standard.py:293:36 @[ attention_bwd.py:19:19 ]
	v_mov_b32_e32 v4, v3
	v_mov_b32_dpp v39, v39 row_bcast:15 row_mask:0xa bank_mask:0xf bound_ctrl:1
.Ltmp142:
	.loc	2 263 15                        ; standard.py:263:15 @[ standard.py:293:36 @[ attention_bwd.py:19:19 ] ]
	v_add_f32_e32 v2, v2, v39
.Ltmp143:
	.loc	2 293 36                        ; standard.py:293:36 @[ attention_bwd.py:19:19 ]
	v_mov_b32_dpp v4, v4 row_bcast:15 row_mask:0xa bank_mask:0xf bound_ctrl:1
.Ltmp144:
	.loc	2 263 15                        ; standard.py:263:15 @[ standard.py:293:36 @[ attention_bwd.py:19:19 ] ]
	v_add_f32_e32 v3, v3, v4
.Ltmp145:
	.loc	1 19 23                         ; attention_bwd.py:19:23
	v_mul_f32_e32 v39, v35, v16
.Ltmp146:
	.loc	2 263 15                        ; standard.py:263:15 @[ standard.py:293:36 @[ attention_bwd.py:19:19 ] ]
	v_add_f32_dpp v2, v2, v2 row_bcast:31 row_mask:0xf bank_mask:0xf bound_ctrl:1
	v_add_f32_dpp v3, v3, v3 row_bcast:31 row_mask:0xf bank_mask:0xf bound_ctrl:1
.Ltmp147:
	.loc	2 293 36                        ; standard.py:293:36 @[ attention_bwd.py:19:19 ]
	v_readlane_b32 s5, v2, 63
	v_readlane_b32 s24, v3, 63
	v_mov_b32_dpp v3, v39 row_shr:8 row_mask:0xf bank_mask:0xf bound_ctrl:1
.Ltmp148:
	.loc	2 263 15                        ; standard.py:263:15 @[ standard.py:293:36 @[ attention_bwd.py:19:19 ] ]
	v_fmac_f32_e32 v3, v35, v16
	v_add_f32_dpp v2, v38, v38 row_shr:4 row_mask:0xf bank_mask:0xf bound_ctrl:1
	s_nop 0
	v_add_f32_dpp v3, v3, v3 row_shr:4 row_mask:0xf bank_mask:0xf bound_ctrl:1
	v_add_f32_dpp v2, v2, v2 row_shr:2 row_mask:0xf bank_mask:0xf bound_ctrl:1
	s_nop 0
	v_add_f32_dpp v3, v3, v3 row_shr:2 row_mask:0xf bank_mask:0xf bound_ctrl:1
	v_add_f32_dpp v2, v2, v2 row_shr:1 row_mask:0xf bank_mask:0xf bound_ctrl:1
.Ltmp149:
	.loc	2 293 36                        ; standard.py:293:36 @[ attention_bwd.py:19:19 ]
	v_mov_b32_e32 v38, v2
.Ltmp150:
	.loc	2 263 15                        ; standard.py:263:15 @[ standard.py:293:36 @[ attention_bwd.py:19:19 ] ]
	v_add_f32_dpp v3, v3, v3 row_shr:1 row_mask:0xf bank_mask:0xf bound_ctrl:1
.Ltmp151:
	.loc	2 293 36                        ; standard.py:293:36 @[ attention_bwd.py:19:19 ]
	v_mov_b32_e32 v4, v3
	v_mov_b32_dpp v38, v38 row_bcast:15 row_mask:0xa bank_mask:0xf bound_ctrl:1
.Ltmp152:
	.loc	2 263 15                        ; standard.py:263:15 @[ standard.py:293:36 @[ attention_bwd.py:19:19 ] ]
	v_add_f32_e32 v2, v2, v38
.Ltmp153:
	.loc	2 293 36                        ; standard.py:293:36 @[ attention_bwd.py:19:19 ]
	v_mov_b32_dpp v4, v4 row_bcast:15 row_mask:0xa bank_mask:0xf bound_ctrl:1
.Ltmp154:
	.loc	2 263 15                        ; standard.py:263:15 @[ standard.py:293:36 @[ attention_bwd.py:19:19 ] ]
	v_add_f32_e32 v3, v3, v4
.Ltmp155:
	.loc	1 19 23                         ; attention_bwd.py:19:23
	v_mul_f32_e32 v38, v36, v17
.Ltmp156:
	.loc	2 263 15                        ; standard.py:263:15 @[ standard.py:293:36 @[ attention_bwd.py:19:19 ] ]
	v_add_f32_dpp v2, v2, v2 row_bcast:31 row_mask:0xf bank_mask:0xf bound_ctrl:1
	v_add_f32_dpp v3, v3, v3 row_bcast:31 row_mask:0xf bank_mask:0xf bound_ctrl:1
.Ltmp157:
	.loc	2 293 36                        ; standard.py:293:36 @[ attention_bwd.py:19:19 ]
	v_readlane_b32 s13, v2, 63
	v_readlane_b32 s23, v3, 63
	v_mov_b32_dpp v3, v38 row_shr:8 row_mask:0xf bank_mask:0xf bound_ctrl:1
.Ltmp158:
	.loc	2 263 15                        ; standard.py:263:15 @[ standard.py:293:36 @[ attention_bwd.py:19:19 ] ]
	v_fmac_f32_e32 v3, v36, v17
	v_add_f32_dpp v2, v20, v20 row_shr:4 row_mask:0xf bank_mask:0xf bound_ctrl:1
	s_nop 0
	v_add_f32_dpp v3, v3, v3 row_shr:4 row_mask:0xf bank_mask:0xf bound_ctrl:1
	v_add_f32_dpp v2, v2, v2 row_shr:2 row_mask:0xf bank_mask:0xf bound_ctrl:1
	s_nop 0
	v_add_f32_dpp v3, v3, v3 row_shr:2 row_mask:0xf bank_mask:0xf bound_ctrl:1
	v_add_f32_dpp v2, v2, v2 row_shr:1 row_mask:0xf bank_mask:0xf bound_ctrl:1
.Ltmp159:
	.loc	2 293 36                        ; standard.py:293:36 @[ attention_bwd.py:19:19 ]
	v_mov_b32_e32 v20, v2
.Ltmp160:
	.loc	2 263 15                        ; standard.py:263:15 @[ standard.py:293:36 @[ attention_bwd.py:19:19 ] ]
	v_add_f32_dpp v3, v3, v3 row_shr:1 row_mask:0xf bank_mask:0xf bound_ctrl:1
.Ltmp161:
	.loc	2 293 36                        ; standard.py:293:36 @[ attention_bwd.py:19:19 ]
	v_mov_b32_e32 v4, v3
	v_mov_b32_dpp v20, v20 row_bcast:15 row_mask:0xa bank_mask:0xf bound_ctrl:1
.Ltmp162:
	.loc	2 263 15                        ; standard.py:263:15 @[ standard.py:293:36 @[ attention_bwd.py:19:19 ] ]
	v_add_f32_e32 v2, v2, v20
.Ltmp163:
	.loc	2 293 36                        ; standard.py:293:36 @[ attention_bwd.py:19:19 ]
	v_mov_b32_dpp v4, v4 row_bcast:15 row_mask:0xa bank_mask:0xf bound_ctrl:1
.Ltmp164:
	.loc	2 263 15                        ; standard.py:263:15 @[ standard.py:293:36 @[ attention_bwd.py:19:19 ] ]
	v_add_f32_e32 v3, v3, v4
.Ltmp165:
	.loc	1 19 23                         ; attention_bwd.py:19:23
	v_mul_f32_e32 v20, v42, v18
.Ltmp166:
	.loc	2 263 15                        ; standard.py:263:15 @[ standard.py:293:36 @[ attention_bwd.py:19:19 ] ]
	v_add_f32_dpp v2, v2, v2 row_bcast:31 row_mask:0xf bank_mask:0xf bound_ctrl:1
	v_add_f32_dpp v3, v3, v3 row_bcast:31 row_mask:0xf bank_mask:0xf bound_ctrl:1
.Ltmp167:
	.loc	2 293 36                        ; standard.py:293:36 @[ attention_bwd.py:19:19 ]
	v_readlane_b32 s6, v2, 63
	v_readlane_b32 s26, v3, 63
	v_mov_b32_dpp v3, v20 row_shr:8 row_mask:0xf bank_mask:0xf bound_ctrl:1
.Ltmp168:
	.loc	2 263 15                        ; standard.py:263:15 @[ standard.py:293:36 @[ attention_bwd.py:19:19 ] ]
	v_fmac_f32_e32 v3, v42, v18
	v_add_f32_dpp v2, v10, v10 row_shr:4 row_mask:0xf bank_mask:0xf bound_ctrl:1
	s_nop 0
	v_add_f32_dpp v3, v3, v3 row_shr:4 row_mask:0xf bank_mask:0xf bound_ctrl:1
	v_add_f32_dpp v2, v2, v2 row_shr:2 row_mask:0xf bank_mask:0xf bound_ctrl:1
	s_nop 0
	v_add_f32_dpp v3, v3, v3 row_shr:2 row_mask:0xf bank_mask:0xf bound_ctrl:1
	v_add_f32_dpp v2, v2, v2 row_shr:1 row_mask:0xf bank_mask:0xf bound_ctrl:1
.Ltmp169:
	.loc	2 293 36                        ; standard.py:293:36 @[ attention_bwd.py:19:19 ]
	v_mov_b32_e32 v10, v2
.Ltmp170:
	.loc	2 263 15                        ; standard.py:263:15 @[ standard.py:293:36 @[ attention_bwd.py:19:19 ] ]
	v_add_f32_dpp v3, v3, v3 row_shr:1 row_mask:0xf bank_mask:0xf bound_ctrl:1
.Ltmp171:
	.loc	2 293 36                        ; standard.py:293:36 @[ attention_bwd.py:19:19 ]
	v_mov_b32_e32 v4, v3
	v_mov_b32_dpp v10, v10 row_bcast:15 row_mask:0xa bank_mask:0xf bound_ctrl:1
.Ltmp172:
	.loc	2 263 15                        ; standard.py:263:15 @[ standard.py:293:36 @[ attention_bwd.py:19:19 ] ]
	v_add_f32_e32 v2, v2, v10
.Ltmp173:
	.loc	2 293 36                        ; standard.py:293:36 @[ attention_bwd.py:19:19 ]
	v_mov_b32_dpp v4, v4 row_bcast:15 row_mask:0xa bank_mask:0xf bound_ctrl:1
.Ltmp174:
	.loc	2 263 15                        ; standard.py:263:15 @[ standard.py:293:36 @[ attention_bwd.py:19:19 ] ]
	v_add_f32_e32 v3, v3, v4
.Ltmp175:
	.loc	1 19 23                         ; attention_bwd.py:19:23
	v_mul_f32_e32 v10, v43, v19
.Ltmp176:
	.loc	2 263 15                        ; standard.py:263:15 @[ standard.py:293:36 @[ attention_bwd.py:19:19 ] ]
	v_add_f32_dpp v2, v2, v2 row_bcast:31 row_mask:0xf bank_mask:0xf bound_ctrl:1
	v_add_f32_dpp v3, v3, v3 row_bcast:31 row_mask:0xf bank_mask:0xf bound_ctrl:1
.Ltmp177:
	.loc	2 293 36                        ; standard.py:293:36 @[ attention_bwd.py:19:19 ]
	v_readlane_b32 s14, v2, 63
	v_readlane_b32 s25, v3, 63
	v_mov_b32_dpp v3, v10 row_shr:8 row_mask:0xf bank_mask:0xf bound_ctrl:1
.Ltmp178:
	.loc	2 263 15                        ; standard.py:263:15 @[ standard.py:293:36 @[ attention_bwd.py:19:19 ] ]
	v_fmac_f32_e32 v3, v43, v19
	v_add_f32_dpp v2, v11, v11 row_shr:4 row_mask:0xf bank_mask:0xf bound_ctrl:1
	s_nop 0
	v_add_f32_dpp v3, v3, v3 row_shr:4 row_mask:0xf bank_mask:0xf bound_ctrl:1
	v_add_f32_dpp v2, v2, v2 row_shr:2 row_mask:0xf bank_mask:0xf bound_ctrl:1
	s_nop 0
	v_add_f32_dpp v3, v3, v3 row_shr:2 row_mask:0xf bank_mask:0xf bound_ctrl:1
	v_add_f32_dpp v2, v2, v2 row_shr:1 row_mask:0xf bank_mask:0xf bound_ctrl:1
.Ltmp179:
	.loc	2 293 36                        ; standard.py:293:36 @[ attention_bwd.py:19:19 ]
	v_mov_b32_e32 v11, v2
.Ltmp180:
	.loc	2 263 15                        ; standard.py:263:15 @[ standard.py:293:36 @[ attention_bwd.py:19:19 ] ]
	v_add_f32_dpp v3, v3, v3 row_shr:1 row_mask:0xf bank_mask:0xf bound_ctrl:1
.Ltmp181:
	.loc	2 293 36                        ; standard.py:293:36 @[ attention_bwd.py:19:19 ]
	v_mov_b32_e32 v4, v3
	v_mov_b32_dpp v11, v11 row_bcast:15 row_mask:0xa bank_mask:0xf bound_ctrl:1
.Ltmp182:
	.loc	2 263 15                        ; standard.py:263:15 @[ standard.py:293:36 @[ attention_bwd.py:19:19 ] ]
	v_add_f32_e32 v2, v2, v11
.Ltmp183:
	.loc	2 293 36                        ; standard.py:293:36 @[ attention_bwd.py:19:19 ]
	v_mov_b32_dpp v4, v4 row_bcast:15 row_mask:0xa bank_mask:0xf bound_ctrl:1
.Ltmp184:
	.loc	2 263 15                        ; standard.py:263:15 @[ standard.py:293:36 @[ attention_bwd.py:19:19 ] ]
	v_add_f32_e32 v3, v3, v4
.Ltmp185:
	.loc	1 19 23                         ; attention_bwd.py:19:23
	v_mul_f32_e32 v11, v44, v21
.Ltmp186:
	.loc	2 263 15                        ; standard.py:263:15 @[ standard.py:293:36 @[ attention_bwd.py:19:19 ] ]
	v_add_f32_dpp v2, v2, v2 row_bcast:31 row_mask:0xf bank_mask:0xf bound_ctrl:1
	v_add_f32_dpp v3, v3, v3 row_bcast:31 row_mask:0xf bank_mask:0xf bound_ctrl:1
.Ltmp187:
	.loc	2 293 36                        ; standard.py:293:36 @[ attention_bwd.py:19:19 ]
	v_readlane_b32 s7, v2, 63
	v_readlane_b32 s28, v3, 63
	v_mov_b32_dpp v3, v11 row_shr:8 row_mask:0xf bank_mask:0xf bound_ctrl:1
.Ltmp188:
	.loc	2 263 15                        ; standard.py:263:15 @[ standard.py:293:36 @[ attention_bwd.py:19:19 ] ]
	v_fmac_f32_e32 v3, v44, v21
	v_add_f32_dpp v2, v9, v9 row_shr:4 row_mask:0xf bank_mask:0xf bound_ctrl:1
	s_nop 0
	v_add_f32_dpp v3, v3, v3 row_shr:4 row_mask:0xf bank_mask:0xf bound_ctrl:1
	v_add_f32_dpp v2, v2, v2 row_shr:2 row_mask:0xf bank_mask:0xf bound_ctrl:1
	s_nop 0
	v_add_f32_dpp v3, v3, v3 row_shr:2 row_mask:0xf bank_mask:0xf bound_ctrl:1
	v_add_f32_dpp v2, v2, v2 row_shr:1 row_mask:0xf bank_mask:0xf bound_ctrl:1
.Ltmp189:
	.loc	2 293 36                        ; standard.py:293:36 @[ attention_bwd.py:19:19 ]
	v_mov_b32_e32 v9, v2
.Ltmp190:
	.loc	2 263 15                        ; standard.py:263:15 @[ standard.py:293:36 @[ attention_bwd.py:19:19 ] ]
	v_add_f32_dpp v3, v3, v3 row_shr:1 row_mask:0xf bank_mask:0xf bound_ctrl:1
.Ltmp191:
	.loc	2 293 36                        ; standard.py:293:36 @[ attention_bwd.py:19:19 ]
	v_mov_b32_e32 v4, v3
	v_mov_b32_dpp v9, v9 row_bcast:15 row_mask:0xa bank_mask:0xf bound_ctrl:1
.Ltmp192:
	.loc	2 263 15                        ; standard.py:263:15 @[ standard.py:293:36 @[ attention_bwd.py:19:19 ] ]
	v_add_f32_e32 v2, v2, v9
.Ltmp193:
	.loc	2 293 36                        ; standard.py:293:36 @[ attention_bwd.py:19:19 ]
	v_mov_b32_dpp v4, v4 row_bcast:15 row_mask:0xa bank_mask:0xf bound_ctrl:1
.Ltmp194:
	.loc	2 263 15                        ; standard.py:263:15 @[ standard.py:293:36 @[ attention_bwd.py:19:19 ] ]
	v_add_f32_e32 v3, v3, v4
.Ltmp195:
	.loc	1 19 23                         ; attention_bwd.py:19:23
	v_mul_f32_e32 v9, v47, v22
.Ltmp196:
	.loc	2 263 15                        ; standard.py:263:15 @[ standard.py:293:36 @[ attention_bwd.py:19:19 ] ]
	v_add_f32_dpp v2, v2, v2 row_bcast:31 row_mask:0xf bank_mask:0xf bound_ctrl:1
	v_add_f32_dpp v3, v3, v3 row_bcast:31 row_mask:0xf bank_mask:0xf bound_ctrl:1
.Ltmp197:
	.loc	2 293 36                        ; standard.py:293:36 @[ attention_bwd.py:19:19 ]
	v_readlane_b32 s15, v2, 63
	v_readlane_b32 s27, v3, 63
	v_mov_b32_dpp v3, v9 row_shr:8 row_mask:0xf bank_mask:0xf bound_ctrl:1
.Ltmp198:
	.loc	2 263 15                        ; standard.py:263:15 @[ standard.py:293:36 @[ attention_bwd.py:19:19 ] ]
	v_fmac_f32_e32 v3, v47, v22
	v_add_f32_dpp v2, v8, v8 row_shr:4 row_mask:0xf bank_mask:0xf bound_ctrl:1
	s_nop 0
	v_add_f32_dpp v3, v3, v3 row_shr:4 row_mask:0xf bank_mask:0xf bound_ctrl:1
	v_add_f32_dpp v2, v2, v2 row_shr:2 row_mask:0xf bank_mask:0xf bound_ctrl:1
	s_nop 0
	v_add_f32_dpp v3, v3, v3 row_shr:2 row_mask:0xf bank_mask:0xf bound_ctrl:1
	v_add_f32_dpp v2, v2, v2 row_shr:1 row_mask:0xf bank_mask:0xf bound_ctrl:1
.Ltmp199:
	.loc	2 293 36                        ; standard.py:293:36 @[ attention_bwd.py:19:19 ]
	v_mov_b32_e32 v8, v2
.Ltmp200:
	.loc	2 263 15                        ; standard.py:263:15 @[ standard.py:293:36 @[ attention_bwd.py:19:19 ] ]
	v_add_f32_dpp v3, v3, v3 row_shr:1 row_mask:0xf bank_mask:0xf bound_ctrl:1
.Ltmp201:
	.loc	2 293 36                        ; standard.py:293:36 @[ attention_bwd.py:19:19 ]
	v_mov_b32_e32 v4, v3
	v_mov_b32_dpp v8, v8 row_bcast:15 row_mask:0xa bank_mask:0xf bound_ctrl:1
.Ltmp202:
	.loc	2 263 15                        ; standard.py:263:15 @[ standard.py:293:36 @[ attention_bwd.py:19:19 ] ]
	v_add_f32_e32 v2, v2, v8
.Ltmp203:
	.loc	2 293 36                        ; standard.py:293:36 @[ attention_bwd.py:19:19 ]
	v_mov_b32_dpp v4, v4 row_bcast:15 row_mask:0xa bank_mask:0xf bound_ctrl:1
.Ltmp204:
	.loc	2 263 15                        ; standard.py:263:15 @[ standard.py:293:36 @[ attention_bwd.py:19:19 ] ]
	v_add_f32_e32 v3, v3, v4
.Ltmp205:
	.loc	1 19 23                         ; attention_bwd.py:19:23
	v_mul_f32_e32 v8, v48, v23
.Ltmp206:
	.loc	2 263 15                        ; standard.py:263:15 @[ standard.py:293:36 @[ attention_bwd.py:19:19 ] ]
	v_add_f32_dpp v2, v2, v2 row_bcast:31 row_mask:0xf bank_mask:0xf bound_ctrl:1
	v_add_f32_dpp v3, v3, v3 row_bcast:31 row_mask:0xf bank_mask:0xf bound_ctrl:1
.Ltmp207:
	.loc	2 293 36                        ; standard.py:293:36 @[ attention_bwd.py:19:19 ]
	v_readlane_b32 s9, v2, 63
	v_readlane_b32 s30, v3, 63
	v_mov_b32_dpp v3, v8 row_shr:8 row_mask:0xf bank_mask:0xf bound_ctrl:1
.Ltmp208:
	.loc	2 263 15                        ; standard.py:263:15 @[ standard.py:293:36 @[ attention_bwd.py:19:19 ] ]
	v_fmac_f32_e32 v3, v48, v23
	v_add_f32_dpp v2, v7, v7 row_shr:4 row_mask:0xf bank_mask:0xf bound_ctrl:1
	s_nop 0
	v_add_f32_dpp v3, v3, v3 row_shr:4 row_mask:0xf bank_mask:0xf bound_ctrl:1
	v_add_f32_dpp v2, v2, v2 row_shr:2 row_mask:0xf bank_mask:0xf bound_ctrl:1
	s_nop 0
	v_add_f32_dpp v3, v3, v3 row_shr:2 row_mask:0xf bank_mask:0xf bound_ctrl:1
	v_add_f32_dpp v2, v2, v2 row_shr:1 row_mask:0xf bank_mask:0xf bound_ctrl:1
.Ltmp209:
	.loc	2 293 36                        ; standard.py:293:36 @[ attention_bwd.py:19:19 ]
	v_mov_b32_e32 v7, v2
.Ltmp210:
	.loc	2 263 15                        ; standard.py:263:15 @[ standard.py:293:36 @[ attention_bwd.py:19:19 ] ]
	v_add_f32_dpp v3, v3, v3 row_shr:1 row_mask:0xf bank_mask:0xf bound_ctrl:1
.Ltmp211:
	.loc	2 293 36                        ; standard.py:293:36 @[ attention_bwd.py:19:19 ]
	v_mov_b32_e32 v4, v3
	v_mov_b32_dpp v7, v7 row_bcast:15 row_mask:0xa bank_mask:0xf bound_ctrl:1
.Ltmp212:
	.loc	2 263 15                        ; standard.py:263:15 @[ standard.py:293:36 @[ attention_bwd.py:19:19 ] ]
	v_add_f32_e32 v2, v2, v7
.Ltmp213:
	.loc	2 293 36                        ; standard.py:293:36 @[ attention_bwd.py:19:19 ]
	v_mov_b32_dpp v4, v4 row_bcast:15 row_mask:0xa bank_mask:0xf bound_ctrl:1
.Ltmp214:
	.loc	2 263 15                        ; standard.py:263:15 @[ standard.py:293:36 @[ attention_bwd.py:19:19 ] ]
	v_add_f32_e32 v3, v3, v4
.Ltmp215:
	.loc	1 19 23                         ; attention_bwd.py:19:23
	v_mul_f32_e32 v7, v49, v24
.Ltmp216:
	.loc	2 263 15                        ; standard.py:263:15 @[ standard.py:293:36 @[ attention_bwd.py:19:19 ] ]
	v_add_f32_dpp v2, v2, v2 row_bcast:31 row_mask:0xf bank_mask:0xf bound_ctrl:1
	v_add_f32_dpp v3, v3, v3 row_bcast:31 row_mask:0xf bank_mask:0xf bound_ctrl:1
.Ltmp217:
	.loc	2 293 36                        ; standard.py:293:36 @[ attention_bwd.py:19:19 ]
	v_readlane_b32 s16, v2, 63
	v_readlane_b32 s29, v3, 63
	v_mov_b32_dpp v3, v7 row_shr:8 row_mask:0xf bank_mask:0xf bound_ctrl:1
.Ltmp218:
	.loc	2 263 15                        ; standard.py:263:15 @[ standard.py:293:36 @[ attention_bwd.py:19:19 ] ]
	v_fmac_f32_e32 v3, v49, v24
	v_add_f32_dpp v2, v52, v52 row_shr:4 row_mask:0xf bank_mask:0xf bound_ctrl:1
	s_nop 0
	v_add_f32_dpp v3, v3, v3 row_shr:4 row_mask:0xf bank_mask:0xf bound_ctrl:1
	v_add_f32_dpp v2, v2, v2 row_shr:2 row_mask:0xf bank_mask:0xf bound_ctrl:1
	s_nop 0
	v_add_f32_dpp v3, v3, v3 row_shr:2 row_mask:0xf bank_mask:0xf bound_ctrl:1
	v_add_f32_dpp v2, v2, v2 row_shr:1 row_mask:0xf bank_mask:0xf bound_ctrl:1
.Ltmp219:
	.loc	2 293 36                        ; standard.py:293:36 @[ attention_bwd.py:19:19 ]
	v_mov_b32_e32 v52, v2
.Ltmp220:
	.loc	2 263 15                        ; standard.py:263:15 @[ standard.py:293:36 @[ attention_bwd.py:19:19 ] ]
	v_add_f32_dpp v3, v3, v3 row_shr:1 row_mask:0xf bank_mask:0xf bound_ctrl:1
.Ltmp221:
	.loc	2 293 36                        ; standard.py:293:36 @[ attention_bwd.py:19:19 ]
	v_mov_b32_e32 v4, v3
	v_mov_b32_dpp v52, v52 row_bcast:15 row_mask:0xa bank_mask:0xf bound_ctrl:1
.Ltmp222:
	.loc	2 263 15                        ; standard.py:263:15 @[ standard.py:293:36 @[ attention_bwd.py:19:19 ] ]
	v_add_f32_e32 v2, v2, v52
.Ltmp223:
	.loc	2 293 36                        ; standard.py:293:36 @[ attention_bwd.py:19:19 ]
	v_mov_b32_dpp v4, v4 row_bcast:15 row_mask:0xa bank_mask:0xf bound_ctrl:1
.Ltmp224:
	.loc	2 263 15                        ; standard.py:263:15 @[ standard.py:293:36 @[ attention_bwd.py:19:19 ] ]
	v_add_f32_e32 v3, v3, v4
.Ltmp225:
	.loc	1 19 23                         ; attention_bwd.py:19:23
	v_mul_f32_e32 v52, v50, v25
.Ltmp226:
	.loc	2 263 15                        ; standard.py:263:15 @[ standard.py:293:36 @[ attention_bwd.py:19:19 ] ]
	v_add_f32_dpp v2, v2, v2 row_bcast:31 row_mask:0xf bank_mask:0xf bound_ctrl:1
	v_add_f32_dpp v3, v3, v3 row_bcast:31 row_mask:0xf bank_mask:0xf bound_ctrl:1
.Ltmp227:
	.loc	2 293 36                        ; standard.py:293:36 @[ attention_bwd.py:19:19 ]
	v_readlane_b32 s11, v2, 63
	v_readlane_b32 s33, v3, 63
	v_mov_b32_dpp v3, v52 row_shr:8 row_mask:0xf bank_mask:0xf bound_ctrl:1
.Ltmp228:
	.loc	2 263 15                        ; standard.py:263:15 @[ standard.py:293:36 @[ attention_bwd.py:19:19 ] ]
	v_fmac_f32_e32 v3, v50, v25
.Ltmp229:
	.loc	1 19 23                         ; attention_bwd.py:19:23
	v_mul_f32_e32 v2, v51, v26
.Ltmp230:
	.loc	2 263 15                        ; standard.py:263:15 @[ standard.py:293:36 @[ attention_bwd.py:19:19 ] ]
	s_nop 0
	v_add_f32_dpp v3, v3, v3 row_shr:4 row_mask:0xf bank_mask:0xf bound_ctrl:1
.Ltmp231:
	.loc	2 293 36                        ; standard.py:293:36 @[ attention_bwd.py:19:19 ]
	v_mov_b32_dpp v2, v2 row_shr:8 row_mask:0xf bank_mask:0xf bound_ctrl:1
.Ltmp232:
	.loc	2 263 15                        ; standard.py:263:15 @[ standard.py:293:36 @[ attention_bwd.py:19:19 ] ]
	v_fmac_f32_e32 v2, v51, v26
	v_add_f32_dpp v3, v3, v3 row_shr:2 row_mask:0xf bank_mask:0xf bound_ctrl:1
	s_nop 0
	v_add_f32_dpp v2, v2, v2 row_shr:4 row_mask:0xf bank_mask:0xf bound_ctrl:1
	v_add_f32_dpp v3, v3, v3 row_shr:1 row_mask:0xf bank_mask:0xf bound_ctrl:1
.Ltmp233:
	.loc	2 293 36                        ; standard.py:293:36 @[ attention_bwd.py:19:19 ]
	v_mov_b32_e32 v4, v3
.Ltmp234:
	.loc	2 263 15                        ; standard.py:263:15 @[ standard.py:293:36 @[ attention_bwd.py:19:19 ] ]
	v_add_f32_dpp v2, v2, v2 row_shr:2 row_mask:0xf bank_mask:0xf bound_ctrl:1
.Ltmp235:
	.loc	2 293 36                        ; standard.py:293:36 @[ attention_bwd.py:19:19 ]
	s_nop 0
	v_mov_b32_dpp v4, v4 row_bcast:15 row_mask:0xa bank_mask:0xf bound_ctrl:1
.Ltmp236:
	.loc	2 263 15                        ; standard.py:263:15 @[ standard.py:293:36 @[ attention_bwd.py:19:19 ] ]
	v_add_f32_e32 v3, v3, v4
	v_add_f32_dpp v2, v2, v2 row_shr:1 row_mask:0xf bank_mask:0xf bound_ctrl:1
	s_nop 0
	v_add_f32_dpp v3, v3, v3 row_bcast:31 row_mask:0xf bank_mask:0xf bound_ctrl:1
.Ltmp237:
	.loc	2 293 36                        ; standard.py:293:36 @[ attention_bwd.py:19:19 ]
	s_nop 0
	v_readlane_b32 s31, v3, 63
	v_mov_b32_e32 v3, v2
	s_nop 1
	v_mov_b32_dpp v3, v3 row_bcast:15 row_mask:0xa bank_mask:0xf bound_ctrl:1
.Ltmp238:
	.loc	2 263 15                        ; standard.py:263:15 @[ standard.py:293:36 @[ attention_bwd.py:19:19 ] ]
	v_add_f32_e32 v2, v2, v3
	s_nop 1
	v_add_f32_dpp v2, v2, v2 row_bcast:31 row_mask:0xf bank_mask:0xf bound_ctrl:1
.Ltmp239:
	.loc	2 293 36                        ; standard.py:293:36 @[ attention_bwd.py:19:19 ]
	s_nop 0
	v_readlane_b32 s34, v2, 63
	s_and_saveexec_b64 s[0:1], vcc
	s_cbranch_execnz .LBB0_23
; %bb.1:                                ; %.critedge
	.loc	2 0 36 is_stmt 0                ; standard.py:0:36
	s_or_b64 exec, exec, s[0:1]
	.loc	2 293 36                        ; standard.py:293:36 @[ attention_bwd.py:19:19 ]
	s_and_saveexec_b64 s[0:1], vcc
	s_cbranch_execnz .LBB0_24
.LBB0_2:                                ; %.critedge4
	.loc	2 0 36                          ; standard.py:0:36
	s_or_b64 exec, exec, s[0:1]
	.loc	2 293 36                        ; standard.py:293:36 @[ attention_bwd.py:19:19 ]
	s_and_saveexec_b64 s[0:1], vcc
	s_cbranch_execnz .LBB0_25
.LBB0_3:                                ; %.critedge8
	.loc	2 0 36                          ; standard.py:0:36
	s_or_b64 exec, exec, s[0:1]
	.loc	2 293 36                        ; standard.py:293:36 @[ attention_bwd.py:19:19 ]
	s_and_saveexec_b64 s[0:1], vcc
	s_cbranch_execnz .LBB0_26
.LBB0_4:                                ; %.critedge12
	.loc	2 0 36                          ; standard.py:0:36
	s_or_b64 exec, exec, s[0:1]
	.loc	2 293 36                        ; standard.py:293:36 @[ attention_bwd.py:19:19 ]
	s_and_saveexec_b64 s[0:1], vcc
	s_cbranch_execnz .LBB0_27
.LBB0_5:                                ; %.critedge16
	.loc	2 0 36                          ; standard.py:0:36
	s_or_b64 exec, exec, s[0:1]
	.loc	2 293 36                        ; standard.py:293:36 @[ attention_bwd.py:19:19 ]
	s_and_saveexec_b64 s[0:1], vcc
	s_cbranch_execnz .LBB0_28
.LBB0_6:                                ; %.critedge20
	.loc	2 0 36                          ; standard.py:0:36
	s_or_b64 exec, exec, s[0:1]
	.loc	2 293 36                        ; standard.py:293:36 @[ attention_bwd.py:19:19 ]
	s_and_saveexec_b64 s[0:1], vcc
	s_cbranch_execnz .LBB0_29
.LBB0_7:                                ; %.critedge24
	.loc	2 0 36                          ; standard.py:0:36
	s_or_b64 exec, exec, s[0:1]
	.loc	2 293 36                        ; standard.py:293:36 @[ attention_bwd.py:19:19 ]
	s_and_saveexec_b64 s[0:1], vcc
	s_cbranch_execnz .LBB0_30
.LBB0_8:                                ; %.critedge28
	.loc	2 0 36                          ; standard.py:0:36
	s_or_b64 exec, exec, s[0:1]
	.loc	2 293 36                        ; standard.py:293:36 @[ attention_bwd.py:19:19 ]
	s_and_saveexec_b64 s[0:1], vcc
	s_cbranch_execnz .LBB0_31
.LBB0_9:                                ; %.critedge32
	.loc	2 0 36                          ; standard.py:0:36
	s_or_b64 exec, exec, s[0:1]
	.loc	2 293 36                        ; standard.py:293:36 @[ attention_bwd.py:19:19 ]
	s_and_saveexec_b64 s[0:1], vcc
	s_cbranch_execnz .LBB0_32
.LBB0_10:                               ; %.critedge36
	.loc	2 0 36                          ; standard.py:0:36
	s_or_b64 exec, exec, s[0:1]
	.loc	2 293 36                        ; standard.py:293:36 @[ attention_bwd.py:19:19 ]
	s_and_saveexec_b64 s[0:1], vcc
	s_cbranch_execnz .LBB0_33
.LBB0_11:                               ; %.critedge40
	.loc	2 0 36                          ; standard.py:0:36
	s_or_b64 exec, exec, s[0:1]
	.loc	2 293 36                        ; standard.py:293:36 @[ attention_bwd.py:19:19 ]
	s_and_saveexec_b64 s[0:1], vcc
	s_cbranch_execnz .LBB0_34
.LBB0_12:                               ; %.critedge44
	.loc	2 0 36                          ; standard.py:0:36
	s_or_b64 exec, exec, s[0:1]
	.loc	2 293 36                        ; standard.py:293:36 @[ attention_bwd.py:19:19 ]
	s_and_saveexec_b64 s[0:1], vcc
	s_cbranch_execnz .LBB0_35
.LBB0_13:                               ; %.critedge48
	.loc	2 0 36                          ; standard.py:0:36
	s_or_b64 exec, exec, s[0:1]
	.loc	2 293 36                        ; standard.py:293:36 @[ attention_bwd.py:19:19 ]
	s_and_saveexec_b64 s[0:1], vcc
	s_cbranch_execnz .LBB0_36
.LBB0_14:                               ; %.critedge52
	.loc	2 0 36                          ; standard.py:0:36
	s_or_b64 exec, exec, s[0:1]
	.loc	2 293 36                        ; standard.py:293:36 @[ attention_bwd.py:19:19 ]
	s_and_saveexec_b64 s[0:1], vcc
	s_cbranch_execnz .LBB0_37
.LBB0_15:                               ; %.critedge56
	.loc	2 0 36                          ; standard.py:0:36
	s_or_b64 exec, exec, s[0:1]
	.loc	2 293 36                        ; standard.py:293:36 @[ attention_bwd.py:19:19 ]
	s_and_saveexec_b64 s[0:1], vcc
	s_cbranch_execz .LBB0_17
.LBB0_16:
	.loc	2 0 36                          ; standard.py:0:36
	v_readlane_b32 s2, v64, 20
	s_lshl3_add_u32 s2, s2, 0
	s_lshl2_add_u32 s2, s35, s2
	s_add_i32 s3, s2, -16
	.loc	2 293 36                        ; standard.py:293:36 @[ attention_bwd.py:19:19 ]
	v_mov_b32_e32 v2, s3
	v_mov_b32_e32 v3, s31
	ds_write_b32 v2, v3
	v_mov_b32_e32 v2, s2
	v_mov_b32_e32 v3, s34
	ds_write_b32 v2, v3
.LBB0_17:                               ; %.critedge60
	.loc	2 0 36                          ; standard.py:0:36
	s_or_b64 exec, exec, s[0:1]
	s_movk_i32 s0, 0x80
	.loc	2 293 36                        ; standard.py:293:36 @[ attention_bwd.py:19:19 ]
	v_cmp_gt_u32_e32 vcc, s0, v0
	v_lshl_add_u32 v2, v0, 2, 0
.Ltmp240:
	.loc	1 19 19 is_stmt 1               ; attention_bwd.py:19:19
	v_mov_b32_e32 v3, 0
.Ltmp241:
	.loc	2 293 36                        ; standard.py:293:36 @[ attention_bwd.py:19:19 ]
	s_waitcnt lgkmcnt(0)
	s_barrier
	s_and_saveexec_b64 s[0:1], vcc
; %bb.18:
	ds_read_b32 v3, v2
; %bb.19:
	.loc	2 0 36 is_stmt 0                ; standard.py:0:36
	s_or_b64 exec, exec, s[0:1]
	.loc	2 293 36                        ; standard.py:293:36 @[ attention_bwd.py:19:19 ]
	v_and_b32_e32 v5, 1, v0
	s_waitcnt lgkmcnt(0)
	v_mov_b32_e32 v4, v3
	v_cmp_eq_u32_e64 s[0:1], 0, v5
.Ltmp242:
	.loc	1 0 0                           ; attention_bwd.py:0
	s_and_b32 s2, s38, 0x80
.Ltmp243:
	.loc	2 293 36                        ; standard.py:293:36 @[ attention_bwd.py:19:19 ]
	v_mov_b32_dpp v4, v4 quad_perm:[1,0,3,2] row_mask:0xf bank_mask:0xf
	s_and_b64 s[4:5], vcc, s[0:1]
	s_and_saveexec_b64 s[0:1], s[4:5]
; %bb.20:
	.loc	2 0 36                          ; standard.py:0:36
	v_add_f32_e32 v3, v3, v4
	.loc	2 293 36                        ; standard.py:293:36 @[ attention_bwd.py:19:19 ]
	ds_write_b32 v2, v3
; %bb.21:
	.loc	2 0 36                          ; standard.py:0:36
	s_or_b64 exec, exec, s[0:1]
	.loc	2 293 36                        ; standard.py:293:36 @[ attention_bwd.py:19:19 ]
	s_lshr_b32 s0, s2, 4
	s_add_i32 s0, s0, 0
	v_mov_b32_e32 v2, s0
	s_waitcnt lgkmcnt(0)
	s_barrier
	ds_read2_b32 v[22:23], v2 offset1:8
	s_lshl3_add_u32 s1, s39, 0
	v_mov_b32_e32 v3, s1
	ds_read2_b32 v[6:7], v3 offset1:8
	ds_read2_b32 v[24:25], v2 offset0:16 offset1:24
	ds_read2_b32 v[8:9], v3 offset0:16 offset1:24
	;; [unrolled: 1-line block ×14, first 2 shown]
.Ltmp244:
	.loc	1 21 45 is_stmt 1               ; attention_bwd.py:21:45
	s_add_i32 s0, s2, 0
	s_waitcnt lgkmcnt(14)
	v_mov_b32_e32 v4, v22
	v_mov_b32_e32 v5, v6
	;; [unrolled: 1-line block ×4, first 2 shown]
	s_waitcnt lgkmcnt(0)
	s_barrier
	ds_write_b128 v2, v[4:7]
	v_mov_b32_e32 v6, v24
	v_mov_b32_e32 v7, v8
	v_mov_b32_e32 v8, v25
	ds_write_b128 v2, v[6:9] offset:16
	v_mov_b32_e32 v8, v26
	v_mov_b32_e32 v9, v10
	v_mov_b32_e32 v10, v27
	ds_write_b128 v2, v[8:11] offset:32
	;; [unrolled: 4-line block ×6, first 2 shown]
	v_mov_b32_e32 v18, v36
	v_mov_b32_e32 v19, v20
	;; [unrolled: 1-line block ×3, first 2 shown]
	s_and_b32 s0, s38, 0xc0
	ds_write_b128 v2, v[18:21] offset:112
	s_waitcnt lgkmcnt(0)
	s_barrier
	s_cbranch_scc0 .LBB0_38
; %bb.22:
	.loc	1 21 4 is_stmt 0                ; attention_bwd.py:21:4
	s_endpgm
.LBB0_23:
	.loc	1 0 4                           ; attention_bwd.py:0:4
	s_lshl3_add_u32 s36, s39, 0
	s_lshl2_add_u32 s36, s35, s36
	s_add_i32 s37, s36, -16
.Ltmp245:
	.loc	2 293 36 is_stmt 1              ; standard.py:293:36 @[ attention_bwd.py:19:19 ]
	v_mov_b32_e32 v2, s37
	v_mov_b32_e32 v3, s2
	ds_write_b32 v2, v3
	v_mov_b32_e32 v2, s36
	v_mov_b32_e32 v3, s8
	ds_write_b32 v2, v3
	s_or_b64 exec, exec, s[0:1]
	s_and_saveexec_b64 s[0:1], vcc
	s_cbranch_execz .LBB0_2
.LBB0_24:
	.loc	2 0 36 is_stmt 0                ; standard.py:0:36
	v_readlane_b32 s2, v64, 6
	s_lshl3_add_u32 s2, s2, 0
	s_lshl2_add_u32 s2, s35, s2
	s_add_i32 s8, s2, -16
	.loc	2 293 36                        ; standard.py:293:36 @[ attention_bwd.py:19:19 ]
	v_mov_b32_e32 v2, s8
	v_mov_b32_e32 v3, s3
	ds_write_b32 v2, v3
	v_mov_b32_e32 v2, s2
	v_mov_b32_e32 v3, s10
	ds_write_b32 v2, v3
	s_or_b64 exec, exec, s[0:1]
	s_and_saveexec_b64 s[0:1], vcc
	s_cbranch_execz .LBB0_3
.LBB0_25:
	.loc	2 0 36                          ; standard.py:0:36
	v_readlane_b32 s2, v64, 7
	s_lshl3_add_u32 s2, s2, 0
	s_lshl2_add_u32 s2, s35, s2
	s_add_i32 s3, s2, -16
	.loc	2 293 36                        ; standard.py:293:36 @[ attention_bwd.py:19:19 ]
	v_mov_b32_e32 v2, s3
	v_mov_b32_e32 v3, s4
	ds_write_b32 v2, v3
	v_mov_b32_e32 v2, s2
	v_mov_b32_e32 v3, s12
	ds_write_b32 v2, v3
	s_or_b64 exec, exec, s[0:1]
	s_and_saveexec_b64 s[0:1], vcc
	s_cbranch_execz .LBB0_4
.LBB0_26:
	.loc	2 0 36                          ; standard.py:0:36
	v_readlane_b32 s2, v64, 8
	s_lshl3_add_u32 s2, s2, 0
	s_lshl2_add_u32 s2, s35, s2
	s_add_i32 s3, s2, -16
	.loc	2 293 36                        ; standard.py:293:36 @[ attention_bwd.py:19:19 ]
	v_mov_b32_e32 v2, s3
	v_mov_b32_e32 v3, s5
	ds_write_b32 v2, v3
	v_mov_b32_e32 v2, s2
	v_mov_b32_e32 v3, s13
	ds_write_b32 v2, v3
	s_or_b64 exec, exec, s[0:1]
	s_and_saveexec_b64 s[0:1], vcc
	s_cbranch_execz .LBB0_5
.LBB0_27:
	.loc	2 0 36                          ; standard.py:0:36
	v_readlane_b32 s2, v64, 9
	s_lshl3_add_u32 s2, s2, 0
	s_lshl2_add_u32 s2, s35, s2
	s_add_i32 s3, s2, -16
	.loc	2 293 36                        ; standard.py:293:36 @[ attention_bwd.py:19:19 ]
	v_mov_b32_e32 v2, s3
	v_mov_b32_e32 v3, s6
	ds_write_b32 v2, v3
	v_mov_b32_e32 v2, s2
	v_mov_b32_e32 v3, s14
	ds_write_b32 v2, v3
	s_or_b64 exec, exec, s[0:1]
	s_and_saveexec_b64 s[0:1], vcc
	s_cbranch_execz .LBB0_6
.LBB0_28:
	.loc	2 0 36                          ; standard.py:0:36
	v_readlane_b32 s2, v64, 10
	s_lshl3_add_u32 s2, s2, 0
	s_lshl2_add_u32 s2, s35, s2
	s_add_i32 s3, s2, -16
	.loc	2 293 36                        ; standard.py:293:36 @[ attention_bwd.py:19:19 ]
	v_mov_b32_e32 v2, s3
	v_mov_b32_e32 v3, s7
	ds_write_b32 v2, v3
	v_mov_b32_e32 v2, s2
	v_mov_b32_e32 v3, s15
	ds_write_b32 v2, v3
	s_or_b64 exec, exec, s[0:1]
	s_and_saveexec_b64 s[0:1], vcc
	s_cbranch_execz .LBB0_7
.LBB0_29:
	.loc	2 0 36                          ; standard.py:0:36
	v_readlane_b32 s2, v64, 11
	s_lshl3_add_u32 s2, s2, 0
	s_lshl2_add_u32 s2, s35, s2
	s_add_i32 s3, s2, -16
	.loc	2 293 36                        ; standard.py:293:36 @[ attention_bwd.py:19:19 ]
	v_mov_b32_e32 v2, s3
	v_mov_b32_e32 v3, s9
	ds_write_b32 v2, v3
	v_mov_b32_e32 v2, s2
	v_mov_b32_e32 v3, s16
	ds_write_b32 v2, v3
	s_or_b64 exec, exec, s[0:1]
	s_and_saveexec_b64 s[0:1], vcc
	s_cbranch_execz .LBB0_8
.LBB0_30:
	.loc	2 0 36                          ; standard.py:0:36
	v_readlane_b32 s2, v64, 12
	s_lshl3_add_u32 s2, s2, 0
	s_lshl2_add_u32 s2, s35, s2
	s_add_i32 s3, s2, -16
	.loc	2 293 36                        ; standard.py:293:36 @[ attention_bwd.py:19:19 ]
	v_mov_b32_e32 v2, s3
	v_mov_b32_e32 v3, s11
	ds_write_b32 v2, v3
	v_mov_b32_e32 v2, s2
	v_mov_b32_e32 v3, s18
	ds_write_b32 v2, v3
	s_or_b64 exec, exec, s[0:1]
	s_and_saveexec_b64 s[0:1], vcc
	s_cbranch_execz .LBB0_9
.LBB0_31:
	.loc	2 0 36                          ; standard.py:0:36
	v_readlane_b32 s2, v64, 13
	s_lshl3_add_u32 s2, s2, 0
	s_lshl2_add_u32 s2, s35, s2
	s_add_i32 s3, s2, -16
	.loc	2 293 36                        ; standard.py:293:36 @[ attention_bwd.py:19:19 ]
	v_mov_b32_e32 v2, s3
	v_mov_b32_e32 v3, s17
	ds_write_b32 v2, v3
	v_mov_b32_e32 v2, s2
	v_mov_b32_e32 v3, s20
	ds_write_b32 v2, v3
	s_or_b64 exec, exec, s[0:1]
	s_and_saveexec_b64 s[0:1], vcc
	s_cbranch_execz .LBB0_10
.LBB0_32:
	.loc	2 0 36                          ; standard.py:0:36
	v_readlane_b32 s2, v64, 14
	s_lshl3_add_u32 s2, s2, 0
	s_lshl2_add_u32 s2, s35, s2
	s_add_i32 s3, s2, -16
	.loc	2 293 36                        ; standard.py:293:36 @[ attention_bwd.py:19:19 ]
	v_mov_b32_e32 v2, s3
	v_mov_b32_e32 v3, s19
	ds_write_b32 v2, v3
	v_mov_b32_e32 v2, s2
	v_mov_b32_e32 v3, s22
	ds_write_b32 v2, v3
	s_or_b64 exec, exec, s[0:1]
	s_and_saveexec_b64 s[0:1], vcc
	s_cbranch_execz .LBB0_11
.LBB0_33:
	.loc	2 0 36                          ; standard.py:0:36
	v_readlane_b32 s2, v64, 15
	s_lshl3_add_u32 s2, s2, 0
	s_lshl2_add_u32 s2, s35, s2
	s_add_i32 s3, s2, -16
	.loc	2 293 36                        ; standard.py:293:36 @[ attention_bwd.py:19:19 ]
	v_mov_b32_e32 v2, s3
	v_mov_b32_e32 v3, s21
	ds_write_b32 v2, v3
	v_mov_b32_e32 v2, s2
	v_mov_b32_e32 v3, s24
	ds_write_b32 v2, v3
	s_or_b64 exec, exec, s[0:1]
	s_and_saveexec_b64 s[0:1], vcc
	s_cbranch_execz .LBB0_12
.LBB0_34:
	.loc	2 0 36                          ; standard.py:0:36
	v_readlane_b32 s2, v64, 16
	s_lshl3_add_u32 s2, s2, 0
	s_lshl2_add_u32 s2, s35, s2
	s_add_i32 s3, s2, -16
	.loc	2 293 36                        ; standard.py:293:36 @[ attention_bwd.py:19:19 ]
	v_mov_b32_e32 v2, s3
	v_mov_b32_e32 v3, s23
	ds_write_b32 v2, v3
	v_mov_b32_e32 v2, s2
	v_mov_b32_e32 v3, s26
	ds_write_b32 v2, v3
	s_or_b64 exec, exec, s[0:1]
	s_and_saveexec_b64 s[0:1], vcc
	s_cbranch_execz .LBB0_13
.LBB0_35:
	.loc	2 0 36                          ; standard.py:0:36
	v_readlane_b32 s2, v64, 17
	s_lshl3_add_u32 s2, s2, 0
	s_lshl2_add_u32 s2, s35, s2
	s_add_i32 s3, s2, -16
	.loc	2 293 36                        ; standard.py:293:36 @[ attention_bwd.py:19:19 ]
	v_mov_b32_e32 v2, s3
	v_mov_b32_e32 v3, s25
	ds_write_b32 v2, v3
	v_mov_b32_e32 v2, s2
	v_mov_b32_e32 v3, s28
	ds_write_b32 v2, v3
	s_or_b64 exec, exec, s[0:1]
	s_and_saveexec_b64 s[0:1], vcc
	s_cbranch_execz .LBB0_14
.LBB0_36:
	.loc	2 0 36                          ; standard.py:0:36
	v_readlane_b32 s2, v64, 18
	s_lshl3_add_u32 s2, s2, 0
	s_lshl2_add_u32 s2, s35, s2
	s_add_i32 s3, s2, -16
	.loc	2 293 36                        ; standard.py:293:36 @[ attention_bwd.py:19:19 ]
	v_mov_b32_e32 v2, s3
	v_mov_b32_e32 v3, s27
	ds_write_b32 v2, v3
	v_mov_b32_e32 v2, s2
	v_mov_b32_e32 v3, s30
	ds_write_b32 v2, v3
	s_or_b64 exec, exec, s[0:1]
	s_and_saveexec_b64 s[0:1], vcc
	s_cbranch_execz .LBB0_15
.LBB0_37:
	.loc	2 0 36                          ; standard.py:0:36
	v_readlane_b32 s2, v64, 19
	s_lshl3_add_u32 s2, s2, 0
	s_lshl2_add_u32 s2, s35, s2
	s_add_i32 s3, s2, -16
	.loc	2 293 36                        ; standard.py:293:36 @[ attention_bwd.py:19:19 ]
	v_mov_b32_e32 v2, s3
	v_mov_b32_e32 v3, s29
	ds_write_b32 v2, v3
	v_mov_b32_e32 v2, s2
	v_mov_b32_e32 v3, s33
	ds_write_b32 v2, v3
	s_or_b64 exec, exec, s[0:1]
	s_and_saveexec_b64 s[0:1], vcc
	s_cbranch_execnz .LBB0_16
	s_branch .LBB0_17
.Ltmp246:
.LBB0_38:
	.loc	1 13 41 is_stmt 1               ; attention_bwd.py:13:41
	v_or_b32_e32 v2, s54, v1
	.loc	1 21 45                         ; attention_bwd.py:21:45
	v_lshlrev_b32_e32 v1, 7, v0
	v_lshlrev_b32_e32 v0, 1, v0
	v_and_b32_e32 v1, 0x80, v1
	v_and_b32_e32 v0, 0x7c, v0
	v_readlane_b32 s0, v64, 21
	v_add3_u32 v0, 0, v1, v0
	v_readlane_b32 s1, v64, 22
	.loc	1 21 21 is_stmt 0               ; attention_bwd.py:21:21
	s_ashr_i32 s1, s0, 31
	.loc	1 21 45                         ; attention_bwd.py:21:45
	ds_read_b32 v4, v0
	.loc	1 21 21                         ; attention_bwd.py:21:21
	s_lshl_b64 s[0:1], s[0:1], 2
	v_readlane_b32 s2, v64, 0
	v_readlane_b32 s3, v64, 1
	s_add_u32 s0, s2, s0
	s_addc_u32 s1, s3, s1
	.loc	1 21 38                         ; attention_bwd.py:21:38
	v_ashrrev_i32_e32 v3, 31, v2
	v_lshl_add_u64 v[0:1], v[2:3], 2, s[0:1]
	.loc	1 21 45                         ; attention_bwd.py:21:45
	s_waitcnt lgkmcnt(0)
	global_store_dword v[0:1], v4, off
	.loc	1 21 4                          ; attention_bwd.py:21:4
	s_endpgm
.Ltmp247:
	.section	.rodata,"a",@progbits
	.p2align	6, 0x0
	.amdhsa_kernel _attn_bwd_preprocess
		.amdhsa_group_segment_fixed_size 0
		.amdhsa_private_segment_fixed_size 0
		.amdhsa_kernarg_size 56
		.amdhsa_user_sgpr_count 16
		.amdhsa_user_sgpr_dispatch_ptr 0
		.amdhsa_user_sgpr_queue_ptr 0
		.amdhsa_user_sgpr_kernarg_segment_ptr 1
		.amdhsa_user_sgpr_dispatch_id 0
		.amdhsa_user_sgpr_kernarg_preload_length 14
		.amdhsa_user_sgpr_kernarg_preload_offset 0
		.amdhsa_user_sgpr_private_segment_size 0
		.amdhsa_uses_dynamic_stack 0
		.amdhsa_enable_private_segment 0
		.amdhsa_system_sgpr_workgroup_id_x 1
		.amdhsa_system_sgpr_workgroup_id_y 1
		.amdhsa_system_sgpr_workgroup_id_z 0
		.amdhsa_system_sgpr_workgroup_info 0
		.amdhsa_system_vgpr_workitem_id 0
		.amdhsa_next_free_vgpr 65
		.amdhsa_next_free_sgpr 100
		.amdhsa_accum_offset 68
		.amdhsa_reserve_vcc 1
		.amdhsa_reserve_xnack_mask 1
		.amdhsa_float_round_mode_32 0
		.amdhsa_float_round_mode_16_64 0
		.amdhsa_float_denorm_mode_32 3
		.amdhsa_float_denorm_mode_16_64 3
		.amdhsa_dx10_clamp 1
		.amdhsa_ieee_mode 1
		.amdhsa_fp16_overflow 0
		.amdhsa_tg_split 0
		.amdhsa_exception_fp_ieee_invalid_op 0
		.amdhsa_exception_fp_denorm_src 0
		.amdhsa_exception_fp_ieee_div_zero 0
		.amdhsa_exception_fp_ieee_overflow 0
		.amdhsa_exception_fp_ieee_underflow 0
		.amdhsa_exception_fp_ieee_inexact 0
		.amdhsa_exception_int_div_zero 0
	.end_amdhsa_kernel
	.text
.Lfunc_end0:
	.size	_attn_bwd_preprocess, .Lfunc_end0-_attn_bwd_preprocess
	.cfi_endproc
                                        ; -- End function
	.set _attn_bwd_preprocess.num_vgpr, 65
	.set _attn_bwd_preprocess.num_agpr, 0
	.set _attn_bwd_preprocess.numbered_sgpr, 100
	.set _attn_bwd_preprocess.num_named_barrier, 0
	.set _attn_bwd_preprocess.private_seg_size, 0
	.set _attn_bwd_preprocess.uses_vcc, 1
	.set _attn_bwd_preprocess.uses_flat_scratch, 0
	.set _attn_bwd_preprocess.has_dyn_sized_stack, 0
	.set _attn_bwd_preprocess.has_recursion, 0
	.set _attn_bwd_preprocess.has_indirect_call, 0
	.section	.AMDGPU.csdata,"",@progbits
; Kernel info:
; codeLenInByte = 7584
; TotalNumSgprs: 106
; NumVgprs: 65
; NumAgprs: 0
; TotalNumVgprs: 65
; ScratchSize: 0
; MemoryBound: 0
; FloatMode: 240
; IeeeMode: 1
; LDSByteSize: 0 bytes/workgroup (compile time only)
; SGPRBlocks: 13
; VGPRBlocks: 8
; NumSGPRsForWavesPerEU: 106
; NumVGPRsForWavesPerEU: 65
; AccumOffset: 68
; Occupancy: 7
; WaveLimiterHint : 0
; COMPUTE_PGM_RSRC2:SCRATCH_EN: 0
; COMPUTE_PGM_RSRC2:USER_SGPR: 16
; COMPUTE_PGM_RSRC2:TRAP_HANDLER: 0
; COMPUTE_PGM_RSRC2:TGID_X_EN: 1
; COMPUTE_PGM_RSRC2:TGID_Y_EN: 1
; COMPUTE_PGM_RSRC2:TGID_Z_EN: 0
; COMPUTE_PGM_RSRC2:TIDIG_COMP_CNT: 0
; COMPUTE_PGM_RSRC3_GFX90A:ACCUM_OFFSET: 16
; COMPUTE_PGM_RSRC3_GFX90A:TG_SPLIT: 0
	.text
	.p2alignl 6, 3212836864
	.fill 256, 4, 3212836864
	.section	.AMDGPU.gpr_maximums,"",@progbits
	.set amdgpu.max_num_vgpr, 0
	.set amdgpu.max_num_agpr, 0
	.set amdgpu.max_num_sgpr, 0
	.set amdgpu.max_num_named_barrier, 0
	.text
	.section	.debug_abbrev,"",@progbits
	.byte	1                               ; Abbreviation Code
	.byte	17                              ; DW_TAG_compile_unit
	.byte	1                               ; DW_CHILDREN_yes
	.byte	37                              ; DW_AT_producer
	.byte	14                              ; DW_FORM_strp
	.byte	19                              ; DW_AT_language
	.byte	5                               ; DW_FORM_data2
	.byte	3                               ; DW_AT_name
	.byte	14                              ; DW_FORM_strp
	.byte	16                              ; DW_AT_stmt_list
	.byte	23                              ; DW_FORM_sec_offset
	.byte	27                              ; DW_AT_comp_dir
	.byte	14                              ; DW_FORM_strp
	.byte	17                              ; DW_AT_low_pc
	.byte	1                               ; DW_FORM_addr
	.byte	18                              ; DW_AT_high_pc
	.byte	6                               ; DW_FORM_data4
	.byte	0                               ; EOM(1)
	.byte	0                               ; EOM(2)
	.byte	2                               ; Abbreviation Code
	.byte	46                              ; DW_TAG_subprogram
	.byte	0                               ; DW_CHILDREN_no
	.byte	3                               ; DW_AT_name
	.byte	14                              ; DW_FORM_strp
	.byte	32                              ; DW_AT_inline
	.byte	11                              ; DW_FORM_data1
	.byte	0                               ; EOM(1)
	.byte	0                               ; EOM(2)
	.byte	3                               ; Abbreviation Code
	.byte	46                              ; DW_TAG_subprogram
	.byte	1                               ; DW_CHILDREN_yes
	.byte	17                              ; DW_AT_low_pc
	.byte	1                               ; DW_FORM_addr
	.byte	18                              ; DW_AT_high_pc
	.byte	6                               ; DW_FORM_data4
	.byte	49                              ; DW_AT_abstract_origin
	.byte	19                              ; DW_FORM_ref4
	.byte	0                               ; EOM(1)
	.byte	0                               ; EOM(2)
	.byte	4                               ; Abbreviation Code
	.byte	29                              ; DW_TAG_inlined_subroutine
	.byte	1                               ; DW_CHILDREN_yes
	.byte	49                              ; DW_AT_abstract_origin
	.byte	19                              ; DW_FORM_ref4
	.byte	85                              ; DW_AT_ranges
	.byte	23                              ; DW_FORM_sec_offset
	.byte	88                              ; DW_AT_call_file
	.byte	11                              ; DW_FORM_data1
	.byte	89                              ; DW_AT_call_line
	.byte	11                              ; DW_FORM_data1
	.byte	87                              ; DW_AT_call_column
	.byte	11                              ; DW_FORM_data1
	.byte	0                               ; EOM(1)
	.byte	0                               ; EOM(2)
	.byte	5                               ; Abbreviation Code
	.byte	29                              ; DW_TAG_inlined_subroutine
	.byte	0                               ; DW_CHILDREN_no
	.byte	49                              ; DW_AT_abstract_origin
	.byte	19                              ; DW_FORM_ref4
	.byte	85                              ; DW_AT_ranges
	.byte	23                              ; DW_FORM_sec_offset
	.byte	88                              ; DW_AT_call_file
	.byte	11                              ; DW_FORM_data1
	.byte	89                              ; DW_AT_call_line
	.byte	5                               ; DW_FORM_data2
	.byte	87                              ; DW_AT_call_column
	.byte	11                              ; DW_FORM_data1
	.byte	0                               ; EOM(1)
	.byte	0                               ; EOM(2)
	;; [unrolled: 1-line block ×3, first 2 shown]
	.section	.debug_info,"",@progbits
.Lcu_begin0:
	.long	.Ldebug_info_end0-.Ldebug_info_start0 ; Length of Unit
.Ldebug_info_start0:
	.short	4                               ; DWARF version number
	.long	.debug_abbrev                   ; Offset Into Abbrev. Section
	.byte	8                               ; Address Size (in bytes)
	.byte	1                               ; Abbrev [1] 0xb:0x52 DW_TAG_compile_unit
	.long	.Linfo_string0                  ; DW_AT_producer
	.short	2                               ; DW_AT_language
	.long	.Linfo_string1                  ; DW_AT_name
	.long	.Lline_table_start0             ; DW_AT_stmt_list
	.long	.Linfo_string2                  ; DW_AT_comp_dir
	.quad	.Lfunc_begin0                   ; DW_AT_low_pc
	.long	.Lfunc_end0-.Lfunc_begin0       ; DW_AT_high_pc
	.byte	2                               ; Abbrev [2] 0x2a:0x6 DW_TAG_subprogram
	.long	.Linfo_string3                  ; DW_AT_name
	.byte	1                               ; DW_AT_inline
	.byte	3                               ; Abbrev [3] 0x30:0x2c DW_TAG_subprogram
	.quad	.Lfunc_begin0                   ; DW_AT_low_pc
	.long	.Lfunc_end0-.Lfunc_begin0       ; DW_AT_high_pc
	.long	42                              ; DW_AT_abstract_origin
	.byte	4                               ; Abbrev [4] 0x41:0x1a DW_TAG_inlined_subroutine
	.long	42                              ; DW_AT_abstract_origin
	.long	.Ldebug_ranges0                 ; DW_AT_ranges
	.byte	1                               ; DW_AT_call_file
	.byte	19                              ; DW_AT_call_line
	.byte	19                              ; DW_AT_call_column
	.byte	5                               ; Abbrev [5] 0x4d:0xd DW_TAG_inlined_subroutine
	.long	42                              ; DW_AT_abstract_origin
	.long	.Ldebug_ranges1                 ; DW_AT_ranges
	.byte	2                               ; DW_AT_call_file
	.short	293                             ; DW_AT_call_line
	.byte	36                              ; DW_AT_call_column
	.byte	0                               ; End Of Children Mark
	.byte	0                               ; End Of Children Mark
	;; [unrolled: 1-line block ×3, first 2 shown]
.Ldebug_info_end0:
	.section	.debug_ranges,"",@progbits
.Ldebug_ranges0:
	.quad	.Ltmp2-.Lfunc_begin0
	.quad	.Ltmp3-.Lfunc_begin0
	;; [unrolled: 1-line block ×104, first 2 shown]
	.quad	0
	.quad	0
.Ldebug_ranges1:
	.quad	.Ltmp6-.Lfunc_begin0
	.quad	.Ltmp7-.Lfunc_begin0
	;; [unrolled: 1-line block ×210, first 2 shown]
	.quad	0
	.quad	0
	.section	.debug_str,"MS",@progbits,1
.Linfo_string0:
	.asciz	"triton"                        ; string offset=0
.Linfo_string1:
	.asciz	"attention_bwd.py"              ; string offset=7
.Linfo_string2:
	.asciz	"/root/src/amdgpu-assembly/repos/triton-lang__triton-aot" ; string offset=24
.Linfo_string3:
	.asciz	"_attn_bwd_preprocess"          ; string offset=80
	.section	".note.GNU-stack","",@progbits
	.amdgpu_metadata
---
amdhsa.kernels:
  - .agpr_count:     0
    .args:
      - .address_space:  global
        .offset:         0
        .size:           8
        .value_kind:     global_buffer
      - .address_space:  global
        .offset:         8
        .size:           8
        .value_kind:     global_buffer
      - .address_space:  global
        .offset:         16
        .size:           8
        .value_kind:     global_buffer
      - .offset:         24
        .size:           4
        .value_kind:     by_value
      - .offset:         28
        .size:           4
        .value_kind:     by_value
      - .offset:         32
        .size:           4
        .value_kind:     by_value
      - .address_space:  global
        .offset:         40
        .size:           8
        .value_kind:     global_buffer
      - .address_space:  global
        .offset:         48
        .size:           8
        .value_kind:     global_buffer
    .group_segment_fixed_size: 0
    .kernarg_segment_align: 8
    .kernarg_segment_size: 56
    .max_flat_workgroup_size: 256
    .name:           _attn_bwd_preprocess
    .private_segment_fixed_size: 0
    .sgpr_count:     106
    .sgpr_spill_count: 71
    .symbol:         _attn_bwd_preprocess.kd
    .uniform_work_group_size: 1
    .uses_dynamic_stack: false
    .vgpr_count:     65
    .vgpr_spill_count: 0
    .wavefront_size: 64
amdhsa.target:   amdgcn-amd-amdhsa--gfx950
amdhsa.version:
  - 1
  - 2
...

	.end_amdgpu_metadata
	.section	.debug_line,"",@progbits
.Lline_table_start0:
